;; amdgpu-corpus repo=pytorch/pytorch kind=compiled arch=gfx906 opt=O3
	.amdgcn_target "amdgcn-amd-amdhsa--gfx906"
	.amdhsa_code_object_version 6
	.section	.text._ZN2at6native30tinygemm_m16n8k16_chunk_kernelINS0_10ALayout_RMILNS0_14KReductionTypeE0EEENS0_15BLayout_TC_int4ILi2ELi32EEES4_Li8ELi8EEEvPKvS8_S8_Pviiiiii,"axG",@progbits,_ZN2at6native30tinygemm_m16n8k16_chunk_kernelINS0_10ALayout_RMILNS0_14KReductionTypeE0EEENS0_15BLayout_TC_int4ILi2ELi32EEES4_Li8ELi8EEEvPKvS8_S8_Pviiiiii,comdat
	.protected	_ZN2at6native30tinygemm_m16n8k16_chunk_kernelINS0_10ALayout_RMILNS0_14KReductionTypeE0EEENS0_15BLayout_TC_int4ILi2ELi32EEES4_Li8ELi8EEEvPKvS8_S8_Pviiiiii ; -- Begin function _ZN2at6native30tinygemm_m16n8k16_chunk_kernelINS0_10ALayout_RMILNS0_14KReductionTypeE0EEENS0_15BLayout_TC_int4ILi2ELi32EEES4_Li8ELi8EEEvPKvS8_S8_Pviiiiii
	.globl	_ZN2at6native30tinygemm_m16n8k16_chunk_kernelINS0_10ALayout_RMILNS0_14KReductionTypeE0EEENS0_15BLayout_TC_int4ILi2ELi32EEES4_Li8ELi8EEEvPKvS8_S8_Pviiiiii
	.p2align	8
	.type	_ZN2at6native30tinygemm_m16n8k16_chunk_kernelINS0_10ALayout_RMILNS0_14KReductionTypeE0EEENS0_15BLayout_TC_int4ILi2ELi32EEES4_Li8ELi8EEEvPKvS8_S8_Pviiiiii,@function
_ZN2at6native30tinygemm_m16n8k16_chunk_kernelINS0_10ALayout_RMILNS0_14KReductionTypeE0EEENS0_15BLayout_TC_int4ILi2ELi32EEES4_Li8ELi8EEEvPKvS8_S8_Pviiiiii: ; @_ZN2at6native30tinygemm_m16n8k16_chunk_kernelINS0_10ALayout_RMILNS0_14KReductionTypeE0EEENS0_15BLayout_TC_int4ILi2ELi32EEES4_Li8ELi8EEEvPKvS8_S8_Pviiiiii
; %bb.0:
	s_load_dwordx2 s[2:3], s[4:5], 0x88
	v_mbcnt_lo_u32_b32 v0, -1, 0
	v_mbcnt_hi_u32_b32 v30, -1, v0
	v_readfirstlane_b32 s0, v30
	v_mov_b32_e32 v5, 0
	v_mov_b32_e32 v6, 0
	v_cmp_eq_u32_e64 s[0:1], s0, v30
	s_and_saveexec_b64 s[4:5], s[0:1]
	s_cbranch_execz .LBB0_6
; %bb.1:
	v_mov_b32_e32 v0, 0
	s_waitcnt lgkmcnt(0)
	global_load_dwordx2 v[3:4], v0, s[2:3] offset:24 glc
	s_waitcnt vmcnt(0)
	buffer_wbinvl1_vol
	global_load_dwordx2 v[1:2], v0, s[2:3] offset:40
	global_load_dwordx2 v[5:6], v0, s[2:3]
	s_waitcnt vmcnt(1)
	v_and_b32_e32 v1, v1, v3
	v_and_b32_e32 v2, v2, v4
	v_mul_lo_u32 v2, v2, 24
	v_mul_hi_u32 v7, v1, 24
	v_mul_lo_u32 v1, v1, 24
	v_add_u32_e32 v2, v7, v2
	s_waitcnt vmcnt(0)
	v_add_co_u32_e32 v1, vcc, v5, v1
	v_addc_co_u32_e32 v2, vcc, v6, v2, vcc
	global_load_dwordx2 v[1:2], v[1:2], off glc
	s_waitcnt vmcnt(0)
	global_atomic_cmpswap_x2 v[5:6], v0, v[1:4], s[2:3] offset:24 glc
	s_waitcnt vmcnt(0)
	buffer_wbinvl1_vol
	v_cmp_ne_u64_e32 vcc, v[5:6], v[3:4]
	s_and_saveexec_b64 s[6:7], vcc
	s_cbranch_execz .LBB0_5
; %bb.2:
	s_mov_b64 s[8:9], 0
.LBB0_3:                                ; =>This Inner Loop Header: Depth=1
	s_sleep 1
	global_load_dwordx2 v[1:2], v0, s[2:3] offset:40
	global_load_dwordx2 v[7:8], v0, s[2:3]
	v_mov_b32_e32 v3, v5
	v_mov_b32_e32 v4, v6
	s_waitcnt vmcnt(1)
	v_and_b32_e32 v1, v1, v3
	s_waitcnt vmcnt(0)
	v_mad_u64_u32 v[5:6], s[10:11], v1, 24, v[7:8]
	v_and_b32_e32 v2, v2, v4
	v_mov_b32_e32 v1, v6
	v_mad_u64_u32 v[1:2], s[10:11], v2, 24, v[1:2]
	v_mov_b32_e32 v6, v1
	global_load_dwordx2 v[1:2], v[5:6], off glc
	s_waitcnt vmcnt(0)
	global_atomic_cmpswap_x2 v[5:6], v0, v[1:4], s[2:3] offset:24 glc
	s_waitcnt vmcnt(0)
	buffer_wbinvl1_vol
	v_cmp_eq_u64_e32 vcc, v[5:6], v[3:4]
	s_or_b64 s[8:9], vcc, s[8:9]
	s_andn2_b64 exec, exec, s[8:9]
	s_cbranch_execnz .LBB0_3
; %bb.4:
	s_or_b64 exec, exec, s[8:9]
.LBB0_5:
	s_or_b64 exec, exec, s[6:7]
.LBB0_6:
	s_or_b64 exec, exec, s[4:5]
	v_mov_b32_e32 v4, 0
	s_waitcnt lgkmcnt(0)
	global_load_dwordx2 v[7:8], v4, s[2:3] offset:40
	global_load_dwordx4 v[0:3], v4, s[2:3]
	v_readfirstlane_b32 s5, v6
	v_readfirstlane_b32 s4, v5
	s_mov_b64 s[6:7], exec
	s_waitcnt vmcnt(1)
	v_readfirstlane_b32 s8, v7
	v_readfirstlane_b32 s9, v8
	s_and_b64 s[8:9], s[8:9], s[4:5]
	s_mul_i32 s10, s9, 24
	s_mul_hi_u32 s11, s8, 24
	s_mul_i32 s12, s8, 24
	s_add_i32 s10, s11, s10
	v_mov_b32_e32 v5, s10
	s_waitcnt vmcnt(0)
	v_add_co_u32_e32 v7, vcc, s12, v0
	v_addc_co_u32_e32 v8, vcc, v1, v5, vcc
	s_and_saveexec_b64 s[10:11], s[0:1]
	s_cbranch_execz .LBB0_8
; %bb.7:
	v_mov_b32_e32 v10, s7
	v_mov_b32_e32 v9, s6
	;; [unrolled: 1-line block ×4, first 2 shown]
	global_store_dwordx4 v[7:8], v[9:12], off offset:8
.LBB0_8:
	s_or_b64 exec, exec, s[10:11]
	s_lshl_b64 s[6:7], s[8:9], 12
	v_mov_b32_e32 v5, s7
	v_add_co_u32_e32 v2, vcc, s6, v2
	v_addc_co_u32_e32 v11, vcc, v3, v5, vcc
	v_lshlrev_b32_e32 v29, 6, v30
	s_mov_b32 s8, 0
	v_mov_b32_e32 v3, 33
	v_mov_b32_e32 v5, v4
	;; [unrolled: 1-line block ×3, first 2 shown]
	v_readfirstlane_b32 s6, v2
	v_readfirstlane_b32 s7, v11
	v_add_co_u32_e32 v9, vcc, v2, v29
	s_mov_b32 s9, s8
	s_mov_b32 s10, s8
	;; [unrolled: 1-line block ×3, first 2 shown]
	s_nop 0
	global_store_dwordx4 v29, v[3:6], s[6:7]
	v_mov_b32_e32 v2, s8
	v_addc_co_u32_e32 v10, vcc, 0, v11, vcc
	v_mov_b32_e32 v3, s9
	v_mov_b32_e32 v4, s10
	;; [unrolled: 1-line block ×3, first 2 shown]
	global_store_dwordx4 v29, v[2:5], s[6:7] offset:16
	global_store_dwordx4 v29, v[2:5], s[6:7] offset:32
	;; [unrolled: 1-line block ×3, first 2 shown]
	s_and_saveexec_b64 s[6:7], s[0:1]
	s_cbranch_execz .LBB0_16
; %bb.9:
	v_mov_b32_e32 v6, 0
	global_load_dwordx2 v[13:14], v6, s[2:3] offset:32 glc
	global_load_dwordx2 v[2:3], v6, s[2:3] offset:40
	v_mov_b32_e32 v11, s4
	v_mov_b32_e32 v12, s5
	s_waitcnt vmcnt(0)
	v_and_b32_e32 v2, s4, v2
	v_and_b32_e32 v3, s5, v3
	v_mul_lo_u32 v3, v3, 24
	v_mul_hi_u32 v4, v2, 24
	v_mul_lo_u32 v2, v2, 24
	v_add_u32_e32 v3, v4, v3
	v_add_co_u32_e32 v4, vcc, v0, v2
	v_addc_co_u32_e32 v5, vcc, v1, v3, vcc
	global_store_dwordx2 v[4:5], v[13:14], off
	s_waitcnt vmcnt(0)
	global_atomic_cmpswap_x2 v[2:3], v6, v[11:14], s[2:3] offset:32 glc
	s_waitcnt vmcnt(0)
	v_cmp_ne_u64_e32 vcc, v[2:3], v[13:14]
	s_and_saveexec_b64 s[8:9], vcc
	s_cbranch_execz .LBB0_12
; %bb.10:
	s_mov_b64 s[10:11], 0
.LBB0_11:                               ; =>This Inner Loop Header: Depth=1
	s_sleep 1
	global_store_dwordx2 v[4:5], v[2:3], off
	v_mov_b32_e32 v0, s4
	v_mov_b32_e32 v1, s5
	s_waitcnt vmcnt(0)
	global_atomic_cmpswap_x2 v[0:1], v6, v[0:3], s[2:3] offset:32 glc
	s_waitcnt vmcnt(0)
	v_cmp_eq_u64_e32 vcc, v[0:1], v[2:3]
	v_mov_b32_e32 v3, v1
	s_or_b64 s[10:11], vcc, s[10:11]
	v_mov_b32_e32 v2, v0
	s_andn2_b64 exec, exec, s[10:11]
	s_cbranch_execnz .LBB0_11
.LBB0_12:
	s_or_b64 exec, exec, s[8:9]
	v_mov_b32_e32 v3, 0
	global_load_dwordx2 v[0:1], v3, s[2:3] offset:16
	s_mov_b64 s[8:9], exec
	v_mbcnt_lo_u32_b32 v2, s8, 0
	v_mbcnt_hi_u32_b32 v2, s9, v2
	v_cmp_eq_u32_e32 vcc, 0, v2
	s_and_saveexec_b64 s[10:11], vcc
	s_cbranch_execz .LBB0_14
; %bb.13:
	s_bcnt1_i32_b64 s8, s[8:9]
	v_mov_b32_e32 v2, s8
	s_waitcnt vmcnt(0)
	global_atomic_add_x2 v[0:1], v[2:3], off offset:8
.LBB0_14:
	s_or_b64 exec, exec, s[10:11]
	s_waitcnt vmcnt(0)
	global_load_dwordx2 v[2:3], v[0:1], off offset:16
	s_waitcnt vmcnt(0)
	v_cmp_eq_u64_e32 vcc, 0, v[2:3]
	s_cbranch_vccnz .LBB0_16
; %bb.15:
	global_load_dword v0, v[0:1], off offset:24
	v_mov_b32_e32 v1, 0
	s_waitcnt vmcnt(0)
	v_readfirstlane_b32 s8, v0
	s_and_b32 m0, s8, 0xffffff
	global_store_dwordx2 v[2:3], v[0:1], off
	s_sendmsg sendmsg(MSG_INTERRUPT)
.LBB0_16:
	s_or_b64 exec, exec, s[6:7]
	s_branch .LBB0_20
.LBB0_17:                               ;   in Loop: Header=BB0_20 Depth=1
	s_or_b64 exec, exec, s[6:7]
	v_readfirstlane_b32 s6, v0
	s_cmp_eq_u32 s6, 0
	s_cbranch_scc1 .LBB0_19
; %bb.18:                               ;   in Loop: Header=BB0_20 Depth=1
	s_sleep 1
	s_cbranch_execnz .LBB0_20
	s_branch .LBB0_22
.LBB0_19:
	s_branch .LBB0_22
.LBB0_20:                               ; =>This Inner Loop Header: Depth=1
	v_mov_b32_e32 v0, 1
	s_and_saveexec_b64 s[6:7], s[0:1]
	s_cbranch_execz .LBB0_17
; %bb.21:                               ;   in Loop: Header=BB0_20 Depth=1
	global_load_dword v0, v[7:8], off offset:20 glc
	s_waitcnt vmcnt(0)
	buffer_wbinvl1_vol
	v_and_b32_e32 v0, 1, v0
	s_branch .LBB0_17
.LBB0_22:
	global_load_dwordx2 v[0:1], v[9:10], off
	s_and_saveexec_b64 s[6:7], s[0:1]
	s_cbranch_execz .LBB0_25
; %bb.23:
	v_mov_b32_e32 v8, 0
	global_load_dwordx2 v[2:3], v8, s[2:3] offset:40
	global_load_dwordx2 v[11:12], v8, s[2:3] offset:24 glc
	global_load_dwordx2 v[4:5], v8, s[2:3]
	s_waitcnt vmcnt(2)
	v_readfirstlane_b32 s8, v2
	v_readfirstlane_b32 s9, v3
	s_add_u32 s10, s8, 1
	s_addc_u32 s11, s9, 0
	s_add_u32 s0, s10, s4
	s_addc_u32 s1, s11, s5
	s_cmp_eq_u64 s[0:1], 0
	s_cselect_b32 s1, s11, s1
	s_cselect_b32 s0, s10, s0
	s_and_b64 s[4:5], s[0:1], s[8:9]
	s_mul_i32 s5, s5, 24
	s_mul_hi_u32 s8, s4, 24
	s_mul_i32 s4, s4, 24
	s_add_i32 s5, s8, s5
	v_mov_b32_e32 v2, s5
	s_waitcnt vmcnt(0)
	v_add_co_u32_e32 v6, vcc, s4, v4
	v_addc_co_u32_e32 v7, vcc, v5, v2, vcc
	v_mov_b32_e32 v9, s0
	global_store_dwordx2 v[6:7], v[11:12], off
	v_mov_b32_e32 v10, s1
	s_waitcnt vmcnt(0)
	global_atomic_cmpswap_x2 v[4:5], v8, v[9:12], s[2:3] offset:24 glc
	s_mov_b64 s[4:5], 0
	s_waitcnt vmcnt(0)
	v_cmp_ne_u64_e32 vcc, v[4:5], v[11:12]
	s_and_b64 exec, exec, vcc
	s_cbranch_execz .LBB0_25
.LBB0_24:                               ; =>This Inner Loop Header: Depth=1
	s_sleep 1
	global_store_dwordx2 v[6:7], v[4:5], off
	v_mov_b32_e32 v2, s0
	v_mov_b32_e32 v3, s1
	s_waitcnt vmcnt(0)
	global_atomic_cmpswap_x2 v[2:3], v8, v[2:5], s[2:3] offset:24 glc
	s_waitcnt vmcnt(0)
	v_cmp_eq_u64_e32 vcc, v[2:3], v[4:5]
	v_mov_b32_e32 v5, v3
	s_or_b64 s[4:5], vcc, s[4:5]
	v_mov_b32_e32 v4, v2
	s_andn2_b64 exec, exec, s[4:5]
	s_cbranch_execnz .LBB0_24
.LBB0_25:
	s_or_b64 exec, exec, s[6:7]
	s_getpc_b64 s[4:5]
	s_add_u32 s4, s4, .str@rel32@lo+4
	s_addc_u32 s5, s5, .str@rel32@hi+12
	s_cmp_lg_u64 s[4:5], 0
	s_cselect_b64 s[0:1], -1, 0
	s_cmp_eq_u64 s[4:5], 0
	s_mov_b64 s[4:5], 0
	s_cbranch_scc1 .LBB0_29
; %bb.26:
	v_mov_b32_e32 v2, 0
	s_getpc_b64 s[4:5]
	s_add_u32 s4, s4, .str@rel32@lo+3
	s_addc_u32 s5, s5, .str@rel32@hi+11
.LBB0_27:                               ; =>This Inner Loop Header: Depth=1
	global_load_ubyte v3, v2, s[4:5] offset:1
	s_add_u32 s6, s4, 1
	s_addc_u32 s7, s5, 0
	s_mov_b64 s[4:5], s[6:7]
	s_waitcnt vmcnt(0)
	v_cmp_ne_u32_e32 vcc, 0, v3
	s_cbranch_vccnz .LBB0_27
; %bb.28:
	s_getpc_b64 s[4:5]
	s_add_u32 s4, s4, .str@rel32@lo+4
	s_addc_u32 s5, s5, .str@rel32@hi+12
	s_sub_u32 s4, s6, s4
	s_subb_u32 s5, s7, s5
	s_add_u32 s4, s4, 1
	s_addc_u32 s5, s5, 0
.LBB0_29:
	s_and_b64 vcc, exec, s[0:1]
	s_cbranch_vccz .LBB0_115
; %bb.30:
	s_waitcnt vmcnt(0)
	v_and_b32_e32 v6, -3, v0
	v_mov_b32_e32 v7, v1
	v_mov_b32_e32 v26, 0
	;; [unrolled: 1-line block ×4, first 2 shown]
	s_getpc_b64 s[6:7]
	s_add_u32 s6, s6, .str@rel32@lo+4
	s_addc_u32 s7, s7, .str@rel32@hi+12
	s_branch .LBB0_32
.LBB0_31:                               ;   in Loop: Header=BB0_32 Depth=1
	s_or_b64 exec, exec, s[12:13]
	s_sub_u32 s4, s4, s8
	s_subb_u32 s5, s5, s9
	s_add_u32 s6, s6, s8
	s_addc_u32 s7, s7, s9
	s_cmp_lg_u64 s[4:5], 0
	s_cbranch_scc0 .LBB0_114
.LBB0_32:                               ; =>This Loop Header: Depth=1
                                        ;     Child Loop BB0_35 Depth 2
                                        ;     Child Loop BB0_43 Depth 2
	;; [unrolled: 1-line block ×11, first 2 shown]
	v_cmp_lt_u64_e64 s[0:1], s[4:5], 56
	v_cmp_gt_u64_e64 s[10:11], s[4:5], 7
	s_and_b64 s[0:1], s[0:1], exec
	s_cselect_b32 s9, s5, 0
	s_cselect_b32 s8, s4, 56
	s_add_u32 s0, s6, 8
	s_addc_u32 s1, s7, 0
	s_and_b64 vcc, exec, s[10:11]
	s_cbranch_vccnz .LBB0_36
; %bb.33:                               ;   in Loop: Header=BB0_32 Depth=1
	s_cmp_eq_u64 s[4:5], 0
	s_cbranch_scc1 .LBB0_37
; %bb.34:                               ;   in Loop: Header=BB0_32 Depth=1
	s_waitcnt vmcnt(0)
	v_mov_b32_e32 v8, 0
	s_lshl_b64 s[0:1], s[8:9], 3
	s_mov_b64 s[10:11], 0
	v_mov_b32_e32 v9, 0
	s_mov_b64 s[12:13], s[6:7]
.LBB0_35:                               ;   Parent Loop BB0_32 Depth=1
                                        ; =>  This Inner Loop Header: Depth=2
	global_load_ubyte v2, v26, s[12:13]
	s_waitcnt vmcnt(0)
	v_and_b32_e32 v25, 0xffff, v2
	v_lshlrev_b64 v[2:3], s10, v[25:26]
	s_add_u32 s10, s10, 8
	s_addc_u32 s11, s11, 0
	s_add_u32 s12, s12, 1
	s_addc_u32 s13, s13, 0
	v_or_b32_e32 v8, v2, v8
	s_cmp_lg_u32 s0, s10
	v_or_b32_e32 v9, v3, v9
	s_cbranch_scc1 .LBB0_35
	s_branch .LBB0_38
.LBB0_36:                               ;   in Loop: Header=BB0_32 Depth=1
	s_mov_b32 s14, 0
	s_branch .LBB0_39
.LBB0_37:                               ;   in Loop: Header=BB0_32 Depth=1
	s_waitcnt vmcnt(0)
	v_mov_b32_e32 v8, 0
	v_mov_b32_e32 v9, 0
.LBB0_38:                               ;   in Loop: Header=BB0_32 Depth=1
	s_mov_b64 s[0:1], s[6:7]
	s_mov_b32 s14, 0
	s_cbranch_execnz .LBB0_40
.LBB0_39:                               ;   in Loop: Header=BB0_32 Depth=1
	global_load_dwordx2 v[8:9], v26, s[6:7]
	s_add_i32 s14, s8, -8
.LBB0_40:                               ;   in Loop: Header=BB0_32 Depth=1
	s_add_u32 s10, s0, 8
	s_addc_u32 s11, s1, 0
	s_cmp_gt_u32 s14, 7
	s_cbranch_scc1 .LBB0_44
; %bb.41:                               ;   in Loop: Header=BB0_32 Depth=1
	s_cmp_eq_u32 s14, 0
	s_cbranch_scc1 .LBB0_45
; %bb.42:                               ;   in Loop: Header=BB0_32 Depth=1
	v_mov_b32_e32 v10, 0
	s_mov_b64 s[10:11], 0
	v_mov_b32_e32 v11, 0
	s_mov_b64 s[12:13], 0
.LBB0_43:                               ;   Parent Loop BB0_32 Depth=1
                                        ; =>  This Inner Loop Header: Depth=2
	s_add_u32 s16, s0, s12
	s_addc_u32 s17, s1, s13
	global_load_ubyte v2, v26, s[16:17]
	s_add_u32 s12, s12, 1
	s_addc_u32 s13, s13, 0
	s_waitcnt vmcnt(0)
	v_and_b32_e32 v25, 0xffff, v2
	v_lshlrev_b64 v[2:3], s10, v[25:26]
	s_add_u32 s10, s10, 8
	s_addc_u32 s11, s11, 0
	v_or_b32_e32 v10, v2, v10
	s_cmp_lg_u32 s14, s12
	v_or_b32_e32 v11, v3, v11
	s_cbranch_scc1 .LBB0_43
	s_branch .LBB0_46
.LBB0_44:                               ;   in Loop: Header=BB0_32 Depth=1
                                        ; implicit-def: $vgpr10_vgpr11
	s_mov_b32 s15, 0
	s_branch .LBB0_47
.LBB0_45:                               ;   in Loop: Header=BB0_32 Depth=1
	v_mov_b32_e32 v10, 0
	v_mov_b32_e32 v11, 0
.LBB0_46:                               ;   in Loop: Header=BB0_32 Depth=1
	s_mov_b64 s[10:11], s[0:1]
	s_mov_b32 s15, 0
	s_cbranch_execnz .LBB0_48
.LBB0_47:                               ;   in Loop: Header=BB0_32 Depth=1
	global_load_dwordx2 v[10:11], v26, s[0:1]
	s_add_i32 s15, s14, -8
.LBB0_48:                               ;   in Loop: Header=BB0_32 Depth=1
	s_add_u32 s0, s10, 8
	s_addc_u32 s1, s11, 0
	s_cmp_gt_u32 s15, 7
	s_cbranch_scc1 .LBB0_52
; %bb.49:                               ;   in Loop: Header=BB0_32 Depth=1
	s_cmp_eq_u32 s15, 0
	s_cbranch_scc1 .LBB0_53
; %bb.50:                               ;   in Loop: Header=BB0_32 Depth=1
	v_mov_b32_e32 v12, 0
	s_mov_b64 s[0:1], 0
	v_mov_b32_e32 v13, 0
	s_mov_b64 s[12:13], 0
.LBB0_51:                               ;   Parent Loop BB0_32 Depth=1
                                        ; =>  This Inner Loop Header: Depth=2
	s_add_u32 s16, s10, s12
	s_addc_u32 s17, s11, s13
	global_load_ubyte v2, v26, s[16:17]
	s_add_u32 s12, s12, 1
	s_addc_u32 s13, s13, 0
	s_waitcnt vmcnt(0)
	v_and_b32_e32 v25, 0xffff, v2
	v_lshlrev_b64 v[2:3], s0, v[25:26]
	s_add_u32 s0, s0, 8
	s_addc_u32 s1, s1, 0
	v_or_b32_e32 v12, v2, v12
	s_cmp_lg_u32 s15, s12
	v_or_b32_e32 v13, v3, v13
	s_cbranch_scc1 .LBB0_51
	s_branch .LBB0_54
.LBB0_52:                               ;   in Loop: Header=BB0_32 Depth=1
	s_mov_b32 s14, 0
	s_branch .LBB0_55
.LBB0_53:                               ;   in Loop: Header=BB0_32 Depth=1
	v_mov_b32_e32 v12, 0
	v_mov_b32_e32 v13, 0
.LBB0_54:                               ;   in Loop: Header=BB0_32 Depth=1
	s_mov_b64 s[0:1], s[10:11]
	s_mov_b32 s14, 0
	s_cbranch_execnz .LBB0_56
.LBB0_55:                               ;   in Loop: Header=BB0_32 Depth=1
	global_load_dwordx2 v[12:13], v26, s[10:11]
	s_add_i32 s14, s15, -8
.LBB0_56:                               ;   in Loop: Header=BB0_32 Depth=1
	s_add_u32 s10, s0, 8
	s_addc_u32 s11, s1, 0
	s_cmp_gt_u32 s14, 7
	s_cbranch_scc1 .LBB0_60
; %bb.57:                               ;   in Loop: Header=BB0_32 Depth=1
	s_cmp_eq_u32 s14, 0
	s_cbranch_scc1 .LBB0_61
; %bb.58:                               ;   in Loop: Header=BB0_32 Depth=1
	v_mov_b32_e32 v14, 0
	s_mov_b64 s[10:11], 0
	v_mov_b32_e32 v15, 0
	s_mov_b64 s[12:13], 0
.LBB0_59:                               ;   Parent Loop BB0_32 Depth=1
                                        ; =>  This Inner Loop Header: Depth=2
	s_add_u32 s16, s0, s12
	s_addc_u32 s17, s1, s13
	global_load_ubyte v2, v26, s[16:17]
	s_add_u32 s12, s12, 1
	s_addc_u32 s13, s13, 0
	s_waitcnt vmcnt(0)
	v_and_b32_e32 v25, 0xffff, v2
	v_lshlrev_b64 v[2:3], s10, v[25:26]
	s_add_u32 s10, s10, 8
	s_addc_u32 s11, s11, 0
	v_or_b32_e32 v14, v2, v14
	s_cmp_lg_u32 s14, s12
	v_or_b32_e32 v15, v3, v15
	s_cbranch_scc1 .LBB0_59
	s_branch .LBB0_62
.LBB0_60:                               ;   in Loop: Header=BB0_32 Depth=1
                                        ; implicit-def: $vgpr14_vgpr15
	s_mov_b32 s15, 0
	s_branch .LBB0_63
.LBB0_61:                               ;   in Loop: Header=BB0_32 Depth=1
	v_mov_b32_e32 v14, 0
	v_mov_b32_e32 v15, 0
.LBB0_62:                               ;   in Loop: Header=BB0_32 Depth=1
	s_mov_b64 s[10:11], s[0:1]
	s_mov_b32 s15, 0
	s_cbranch_execnz .LBB0_64
.LBB0_63:                               ;   in Loop: Header=BB0_32 Depth=1
	global_load_dwordx2 v[14:15], v26, s[0:1]
	s_add_i32 s15, s14, -8
.LBB0_64:                               ;   in Loop: Header=BB0_32 Depth=1
	s_add_u32 s0, s10, 8
	s_addc_u32 s1, s11, 0
	s_cmp_gt_u32 s15, 7
	s_cbranch_scc1 .LBB0_68
; %bb.65:                               ;   in Loop: Header=BB0_32 Depth=1
	s_cmp_eq_u32 s15, 0
	s_cbranch_scc1 .LBB0_69
; %bb.66:                               ;   in Loop: Header=BB0_32 Depth=1
	v_mov_b32_e32 v16, 0
	s_mov_b64 s[0:1], 0
	v_mov_b32_e32 v17, 0
	s_mov_b64 s[12:13], 0
.LBB0_67:                               ;   Parent Loop BB0_32 Depth=1
                                        ; =>  This Inner Loop Header: Depth=2
	s_add_u32 s16, s10, s12
	s_addc_u32 s17, s11, s13
	global_load_ubyte v2, v26, s[16:17]
	s_add_u32 s12, s12, 1
	s_addc_u32 s13, s13, 0
	s_waitcnt vmcnt(0)
	v_and_b32_e32 v25, 0xffff, v2
	v_lshlrev_b64 v[2:3], s0, v[25:26]
	s_add_u32 s0, s0, 8
	s_addc_u32 s1, s1, 0
	v_or_b32_e32 v16, v2, v16
	s_cmp_lg_u32 s15, s12
	v_or_b32_e32 v17, v3, v17
	s_cbranch_scc1 .LBB0_67
	s_branch .LBB0_70
.LBB0_68:                               ;   in Loop: Header=BB0_32 Depth=1
	s_mov_b32 s14, 0
	s_branch .LBB0_71
.LBB0_69:                               ;   in Loop: Header=BB0_32 Depth=1
	v_mov_b32_e32 v16, 0
	v_mov_b32_e32 v17, 0
.LBB0_70:                               ;   in Loop: Header=BB0_32 Depth=1
	s_mov_b64 s[0:1], s[10:11]
	s_mov_b32 s14, 0
	s_cbranch_execnz .LBB0_72
.LBB0_71:                               ;   in Loop: Header=BB0_32 Depth=1
	global_load_dwordx2 v[16:17], v26, s[10:11]
	s_add_i32 s14, s15, -8
.LBB0_72:                               ;   in Loop: Header=BB0_32 Depth=1
	s_add_u32 s10, s0, 8
	s_addc_u32 s11, s1, 0
	s_cmp_gt_u32 s14, 7
	s_cbranch_scc1 .LBB0_76
; %bb.73:                               ;   in Loop: Header=BB0_32 Depth=1
	s_cmp_eq_u32 s14, 0
	s_cbranch_scc1 .LBB0_77
; %bb.74:                               ;   in Loop: Header=BB0_32 Depth=1
	v_mov_b32_e32 v18, 0
	s_mov_b64 s[10:11], 0
	v_mov_b32_e32 v19, 0
	s_mov_b64 s[12:13], 0
.LBB0_75:                               ;   Parent Loop BB0_32 Depth=1
                                        ; =>  This Inner Loop Header: Depth=2
	s_add_u32 s16, s0, s12
	s_addc_u32 s17, s1, s13
	global_load_ubyte v2, v26, s[16:17]
	s_add_u32 s12, s12, 1
	s_addc_u32 s13, s13, 0
	s_waitcnt vmcnt(0)
	v_and_b32_e32 v25, 0xffff, v2
	v_lshlrev_b64 v[2:3], s10, v[25:26]
	s_add_u32 s10, s10, 8
	s_addc_u32 s11, s11, 0
	v_or_b32_e32 v18, v2, v18
	s_cmp_lg_u32 s14, s12
	v_or_b32_e32 v19, v3, v19
	s_cbranch_scc1 .LBB0_75
	s_branch .LBB0_78
.LBB0_76:                               ;   in Loop: Header=BB0_32 Depth=1
                                        ; implicit-def: $vgpr18_vgpr19
	s_mov_b32 s15, 0
	s_branch .LBB0_79
.LBB0_77:                               ;   in Loop: Header=BB0_32 Depth=1
	v_mov_b32_e32 v18, 0
	v_mov_b32_e32 v19, 0
.LBB0_78:                               ;   in Loop: Header=BB0_32 Depth=1
	s_mov_b64 s[10:11], s[0:1]
	s_mov_b32 s15, 0
	s_cbranch_execnz .LBB0_80
.LBB0_79:                               ;   in Loop: Header=BB0_32 Depth=1
	global_load_dwordx2 v[18:19], v26, s[0:1]
	s_add_i32 s15, s14, -8
.LBB0_80:                               ;   in Loop: Header=BB0_32 Depth=1
	s_cmp_gt_u32 s15, 7
	s_cbranch_scc1 .LBB0_84
; %bb.81:                               ;   in Loop: Header=BB0_32 Depth=1
	s_cmp_eq_u32 s15, 0
	s_cbranch_scc1 .LBB0_85
; %bb.82:                               ;   in Loop: Header=BB0_32 Depth=1
	v_mov_b32_e32 v20, 0
	s_mov_b64 s[0:1], 0
	v_mov_b32_e32 v21, 0
	s_mov_b64 s[12:13], s[10:11]
.LBB0_83:                               ;   Parent Loop BB0_32 Depth=1
                                        ; =>  This Inner Loop Header: Depth=2
	global_load_ubyte v2, v26, s[12:13]
	s_add_i32 s15, s15, -1
	s_waitcnt vmcnt(0)
	v_and_b32_e32 v25, 0xffff, v2
	v_lshlrev_b64 v[2:3], s0, v[25:26]
	s_add_u32 s0, s0, 8
	s_addc_u32 s1, s1, 0
	s_add_u32 s12, s12, 1
	s_addc_u32 s13, s13, 0
	v_or_b32_e32 v20, v2, v20
	s_cmp_lg_u32 s15, 0
	v_or_b32_e32 v21, v3, v21
	s_cbranch_scc1 .LBB0_83
	s_branch .LBB0_86
.LBB0_84:                               ;   in Loop: Header=BB0_32 Depth=1
	s_branch .LBB0_87
.LBB0_85:                               ;   in Loop: Header=BB0_32 Depth=1
	v_mov_b32_e32 v20, 0
	v_mov_b32_e32 v21, 0
.LBB0_86:                               ;   in Loop: Header=BB0_32 Depth=1
	s_cbranch_execnz .LBB0_88
.LBB0_87:                               ;   in Loop: Header=BB0_32 Depth=1
	global_load_dwordx2 v[20:21], v26, s[10:11]
.LBB0_88:                               ;   in Loop: Header=BB0_32 Depth=1
	v_readfirstlane_b32 s0, v30
	v_mov_b32_e32 v2, 0
	v_mov_b32_e32 v3, 0
	v_cmp_eq_u32_e64 s[0:1], s0, v30
	s_and_saveexec_b64 s[10:11], s[0:1]
	s_cbranch_execz .LBB0_94
; %bb.89:                               ;   in Loop: Header=BB0_32 Depth=1
	global_load_dwordx2 v[24:25], v26, s[2:3] offset:24 glc
	s_waitcnt vmcnt(0)
	buffer_wbinvl1_vol
	global_load_dwordx2 v[2:3], v26, s[2:3] offset:40
	global_load_dwordx2 v[22:23], v26, s[2:3]
	s_waitcnt vmcnt(1)
	v_and_b32_e32 v2, v2, v24
	v_and_b32_e32 v3, v3, v25
	v_mul_lo_u32 v3, v3, 24
	v_mul_hi_u32 v27, v2, 24
	v_mul_lo_u32 v2, v2, 24
	v_add_u32_e32 v3, v27, v3
	s_waitcnt vmcnt(0)
	v_add_co_u32_e32 v2, vcc, v22, v2
	v_addc_co_u32_e32 v3, vcc, v23, v3, vcc
	global_load_dwordx2 v[22:23], v[2:3], off glc
	s_waitcnt vmcnt(0)
	global_atomic_cmpswap_x2 v[2:3], v26, v[22:25], s[2:3] offset:24 glc
	s_waitcnt vmcnt(0)
	buffer_wbinvl1_vol
	v_cmp_ne_u64_e32 vcc, v[2:3], v[24:25]
	s_and_saveexec_b64 s[12:13], vcc
	s_cbranch_execz .LBB0_93
; %bb.90:                               ;   in Loop: Header=BB0_32 Depth=1
	s_mov_b64 s[14:15], 0
.LBB0_91:                               ;   Parent Loop BB0_32 Depth=1
                                        ; =>  This Inner Loop Header: Depth=2
	s_sleep 1
	global_load_dwordx2 v[22:23], v26, s[2:3] offset:40
	global_load_dwordx2 v[27:28], v26, s[2:3]
	v_mov_b32_e32 v25, v3
	v_mov_b32_e32 v24, v2
	s_waitcnt vmcnt(1)
	v_and_b32_e32 v2, v22, v24
	s_waitcnt vmcnt(0)
	v_mad_u64_u32 v[2:3], s[16:17], v2, 24, v[27:28]
	v_and_b32_e32 v22, v23, v25
	v_mad_u64_u32 v[22:23], s[16:17], v22, 24, v[3:4]
	v_mov_b32_e32 v3, v22
	global_load_dwordx2 v[22:23], v[2:3], off glc
	s_waitcnt vmcnt(0)
	global_atomic_cmpswap_x2 v[2:3], v26, v[22:25], s[2:3] offset:24 glc
	s_waitcnt vmcnt(0)
	buffer_wbinvl1_vol
	v_cmp_eq_u64_e32 vcc, v[2:3], v[24:25]
	s_or_b64 s[14:15], vcc, s[14:15]
	s_andn2_b64 exec, exec, s[14:15]
	s_cbranch_execnz .LBB0_91
; %bb.92:                               ;   in Loop: Header=BB0_32 Depth=1
	s_or_b64 exec, exec, s[14:15]
.LBB0_93:                               ;   in Loop: Header=BB0_32 Depth=1
	s_or_b64 exec, exec, s[12:13]
.LBB0_94:                               ;   in Loop: Header=BB0_32 Depth=1
	s_or_b64 exec, exec, s[10:11]
	global_load_dwordx2 v[27:28], v26, s[2:3] offset:40
	global_load_dwordx4 v[22:25], v26, s[2:3]
	v_readfirstlane_b32 s11, v3
	v_readfirstlane_b32 s10, v2
	s_mov_b64 s[12:13], exec
	s_waitcnt vmcnt(1)
	v_readfirstlane_b32 s14, v27
	v_readfirstlane_b32 s15, v28
	s_and_b64 s[14:15], s[14:15], s[10:11]
	s_mul_i32 s16, s15, 24
	s_mul_hi_u32 s17, s14, 24
	s_mul_i32 s18, s14, 24
	s_add_i32 s16, s17, s16
	v_mov_b32_e32 v2, s16
	s_waitcnt vmcnt(0)
	v_add_co_u32_e32 v27, vcc, s18, v22
	v_addc_co_u32_e32 v28, vcc, v23, v2, vcc
	s_and_saveexec_b64 s[16:17], s[0:1]
	s_cbranch_execz .LBB0_96
; %bb.95:                               ;   in Loop: Header=BB0_32 Depth=1
	v_mov_b32_e32 v2, s12
	v_mov_b32_e32 v3, s13
	global_store_dwordx4 v[27:28], v[2:5], off offset:8
.LBB0_96:                               ;   in Loop: Header=BB0_32 Depth=1
	s_or_b64 exec, exec, s[16:17]
	s_lshl_b64 s[12:13], s[14:15], 12
	v_cmp_gt_u64_e64 s[14:15], s[4:5], 56
	v_mov_b32_e32 v2, s13
	v_add_co_u32_e32 v24, vcc, s12, v24
	s_and_b64 s[12:13], s[14:15], exec
	s_cselect_b32 s12, 0, 2
	s_lshl_b32 s13, s8, 2
	v_addc_co_u32_e32 v31, vcc, v25, v2, vcc
	s_add_i32 s13, s13, 28
	v_and_b32_e32 v2, 0xffffff1f, v6
	s_and_b32 s13, s13, 0x1e0
	v_or_b32_e32 v2, s12, v2
	v_or_b32_e32 v6, s13, v2
	v_readfirstlane_b32 s12, v24
	v_readfirstlane_b32 s13, v31
	s_nop 4
	global_store_dwordx4 v29, v[6:9], s[12:13]
	global_store_dwordx4 v29, v[10:13], s[12:13] offset:16
	global_store_dwordx4 v29, v[14:17], s[12:13] offset:32
	;; [unrolled: 1-line block ×3, first 2 shown]
	s_and_saveexec_b64 s[12:13], s[0:1]
	s_cbranch_execz .LBB0_104
; %bb.97:                               ;   in Loop: Header=BB0_32 Depth=1
	global_load_dwordx2 v[10:11], v26, s[2:3] offset:32 glc
	global_load_dwordx2 v[2:3], v26, s[2:3] offset:40
	v_mov_b32_e32 v8, s10
	v_mov_b32_e32 v9, s11
	s_waitcnt vmcnt(0)
	v_readfirstlane_b32 s14, v2
	v_readfirstlane_b32 s15, v3
	s_and_b64 s[14:15], s[14:15], s[10:11]
	s_mul_i32 s15, s15, 24
	s_mul_hi_u32 s16, s14, 24
	s_mul_i32 s14, s14, 24
	s_add_i32 s15, s16, s15
	v_mov_b32_e32 v3, s15
	v_add_co_u32_e32 v2, vcc, s14, v22
	v_addc_co_u32_e32 v3, vcc, v23, v3, vcc
	global_store_dwordx2 v[2:3], v[10:11], off
	s_waitcnt vmcnt(0)
	global_atomic_cmpswap_x2 v[8:9], v26, v[8:11], s[2:3] offset:32 glc
	s_waitcnt vmcnt(0)
	v_cmp_ne_u64_e32 vcc, v[8:9], v[10:11]
	s_and_saveexec_b64 s[14:15], vcc
	s_cbranch_execz .LBB0_100
; %bb.98:                               ;   in Loop: Header=BB0_32 Depth=1
	s_mov_b64 s[16:17], 0
.LBB0_99:                               ;   Parent Loop BB0_32 Depth=1
                                        ; =>  This Inner Loop Header: Depth=2
	s_sleep 1
	global_store_dwordx2 v[2:3], v[8:9], off
	v_mov_b32_e32 v6, s10
	v_mov_b32_e32 v7, s11
	s_waitcnt vmcnt(0)
	global_atomic_cmpswap_x2 v[6:7], v26, v[6:9], s[2:3] offset:32 glc
	s_waitcnt vmcnt(0)
	v_cmp_eq_u64_e32 vcc, v[6:7], v[8:9]
	v_mov_b32_e32 v9, v7
	s_or_b64 s[16:17], vcc, s[16:17]
	v_mov_b32_e32 v8, v6
	s_andn2_b64 exec, exec, s[16:17]
	s_cbranch_execnz .LBB0_99
.LBB0_100:                              ;   in Loop: Header=BB0_32 Depth=1
	s_or_b64 exec, exec, s[14:15]
	global_load_dwordx2 v[2:3], v26, s[2:3] offset:16
	s_mov_b64 s[16:17], exec
	v_mbcnt_lo_u32_b32 v6, s16, 0
	v_mbcnt_hi_u32_b32 v6, s17, v6
	v_cmp_eq_u32_e32 vcc, 0, v6
	s_and_saveexec_b64 s[14:15], vcc
	s_cbranch_execz .LBB0_102
; %bb.101:                              ;   in Loop: Header=BB0_32 Depth=1
	s_bcnt1_i32_b64 s16, s[16:17]
	v_mov_b32_e32 v25, s16
	s_waitcnt vmcnt(0)
	global_atomic_add_x2 v[2:3], v[25:26], off offset:8
.LBB0_102:                              ;   in Loop: Header=BB0_32 Depth=1
	s_or_b64 exec, exec, s[14:15]
	s_waitcnt vmcnt(0)
	global_load_dwordx2 v[6:7], v[2:3], off offset:16
	s_waitcnt vmcnt(0)
	v_cmp_eq_u64_e32 vcc, 0, v[6:7]
	s_cbranch_vccnz .LBB0_104
; %bb.103:                              ;   in Loop: Header=BB0_32 Depth=1
	global_load_dword v25, v[2:3], off offset:24
	s_waitcnt vmcnt(0)
	v_readfirstlane_b32 s14, v25
	s_and_b32 m0, s14, 0xffffff
	global_store_dwordx2 v[6:7], v[25:26], off
	s_sendmsg sendmsg(MSG_INTERRUPT)
.LBB0_104:                              ;   in Loop: Header=BB0_32 Depth=1
	s_or_b64 exec, exec, s[12:13]
	v_add_co_u32_e32 v2, vcc, v24, v29
	v_addc_co_u32_e32 v3, vcc, 0, v31, vcc
	s_branch .LBB0_108
.LBB0_105:                              ;   in Loop: Header=BB0_108 Depth=2
	s_or_b64 exec, exec, s[12:13]
	v_readfirstlane_b32 s12, v6
	s_cmp_eq_u32 s12, 0
	s_cbranch_scc1 .LBB0_107
; %bb.106:                              ;   in Loop: Header=BB0_108 Depth=2
	s_sleep 1
	s_cbranch_execnz .LBB0_108
	s_branch .LBB0_110
.LBB0_107:                              ;   in Loop: Header=BB0_32 Depth=1
	s_branch .LBB0_110
.LBB0_108:                              ;   Parent Loop BB0_32 Depth=1
                                        ; =>  This Inner Loop Header: Depth=2
	v_mov_b32_e32 v6, 1
	s_and_saveexec_b64 s[12:13], s[0:1]
	s_cbranch_execz .LBB0_105
; %bb.109:                              ;   in Loop: Header=BB0_108 Depth=2
	global_load_dword v6, v[27:28], off offset:20 glc
	s_waitcnt vmcnt(0)
	buffer_wbinvl1_vol
	v_and_b32_e32 v6, 1, v6
	s_branch .LBB0_105
.LBB0_110:                              ;   in Loop: Header=BB0_32 Depth=1
	global_load_dwordx4 v[6:9], v[2:3], off
	s_and_saveexec_b64 s[12:13], s[0:1]
	s_cbranch_execz .LBB0_31
; %bb.111:                              ;   in Loop: Header=BB0_32 Depth=1
	global_load_dwordx2 v[2:3], v26, s[2:3] offset:40
	global_load_dwordx2 v[12:13], v26, s[2:3] offset:24 glc
	global_load_dwordx2 v[8:9], v26, s[2:3]
	s_waitcnt vmcnt(2)
	v_readfirstlane_b32 s14, v2
	v_readfirstlane_b32 s15, v3
	s_add_u32 s16, s14, 1
	s_addc_u32 s17, s15, 0
	s_add_u32 s0, s16, s10
	s_addc_u32 s1, s17, s11
	s_cmp_eq_u64 s[0:1], 0
	s_cselect_b32 s1, s17, s1
	s_cselect_b32 s0, s16, s0
	s_and_b64 s[10:11], s[0:1], s[14:15]
	s_mul_i32 s11, s11, 24
	s_mul_hi_u32 s14, s10, 24
	s_mul_i32 s10, s10, 24
	s_add_i32 s11, s14, s11
	v_mov_b32_e32 v3, s11
	s_waitcnt vmcnt(0)
	v_add_co_u32_e32 v2, vcc, s10, v8
	v_addc_co_u32_e32 v3, vcc, v9, v3, vcc
	v_mov_b32_e32 v10, s0
	global_store_dwordx2 v[2:3], v[12:13], off
	v_mov_b32_e32 v11, s1
	s_waitcnt vmcnt(0)
	global_atomic_cmpswap_x2 v[10:11], v26, v[10:13], s[2:3] offset:24 glc
	s_waitcnt vmcnt(0)
	v_cmp_ne_u64_e32 vcc, v[10:11], v[12:13]
	s_and_b64 exec, exec, vcc
	s_cbranch_execz .LBB0_31
; %bb.112:                              ;   in Loop: Header=BB0_32 Depth=1
	s_mov_b64 s[10:11], 0
.LBB0_113:                              ;   Parent Loop BB0_32 Depth=1
                                        ; =>  This Inner Loop Header: Depth=2
	s_sleep 1
	global_store_dwordx2 v[2:3], v[10:11], off
	v_mov_b32_e32 v8, s0
	v_mov_b32_e32 v9, s1
	s_waitcnt vmcnt(0)
	global_atomic_cmpswap_x2 v[8:9], v26, v[8:11], s[2:3] offset:24 glc
	s_waitcnt vmcnt(0)
	v_cmp_eq_u64_e32 vcc, v[8:9], v[10:11]
	v_mov_b32_e32 v11, v9
	s_or_b64 s[10:11], vcc, s[10:11]
	v_mov_b32_e32 v10, v8
	s_andn2_b64 exec, exec, s[10:11]
	s_cbranch_execnz .LBB0_113
	s_branch .LBB0_31
.LBB0_114:
	s_branch .LBB0_141
.LBB0_115:
	s_cbranch_execz .LBB0_141
; %bb.116:
	v_readfirstlane_b32 s0, v30
	s_waitcnt vmcnt(0)
	v_mov_b32_e32 v8, 0
	v_mov_b32_e32 v9, 0
	v_cmp_eq_u32_e64 s[0:1], s0, v30
	s_and_saveexec_b64 s[4:5], s[0:1]
	s_cbranch_execz .LBB0_122
; %bb.117:
	v_mov_b32_e32 v2, 0
	global_load_dwordx2 v[5:6], v2, s[2:3] offset:24 glc
	s_waitcnt vmcnt(0)
	buffer_wbinvl1_vol
	global_load_dwordx2 v[3:4], v2, s[2:3] offset:40
	global_load_dwordx2 v[7:8], v2, s[2:3]
	s_waitcnt vmcnt(1)
	v_and_b32_e32 v3, v3, v5
	v_and_b32_e32 v4, v4, v6
	v_mul_lo_u32 v4, v4, 24
	v_mul_hi_u32 v9, v3, 24
	v_mul_lo_u32 v3, v3, 24
	v_add_u32_e32 v4, v9, v4
	s_waitcnt vmcnt(0)
	v_add_co_u32_e32 v3, vcc, v7, v3
	v_addc_co_u32_e32 v4, vcc, v8, v4, vcc
	global_load_dwordx2 v[3:4], v[3:4], off glc
	s_waitcnt vmcnt(0)
	global_atomic_cmpswap_x2 v[8:9], v2, v[3:6], s[2:3] offset:24 glc
	s_waitcnt vmcnt(0)
	buffer_wbinvl1_vol
	v_cmp_ne_u64_e32 vcc, v[8:9], v[5:6]
	s_and_saveexec_b64 s[6:7], vcc
	s_cbranch_execz .LBB0_121
; %bb.118:
	s_mov_b64 s[8:9], 0
.LBB0_119:                              ; =>This Inner Loop Header: Depth=1
	s_sleep 1
	global_load_dwordx2 v[3:4], v2, s[2:3] offset:40
	global_load_dwordx2 v[10:11], v2, s[2:3]
	v_mov_b32_e32 v5, v8
	v_mov_b32_e32 v6, v9
	s_waitcnt vmcnt(1)
	v_and_b32_e32 v3, v3, v5
	s_waitcnt vmcnt(0)
	v_mad_u64_u32 v[7:8], s[10:11], v3, 24, v[10:11]
	v_and_b32_e32 v4, v4, v6
	v_mov_b32_e32 v3, v8
	v_mad_u64_u32 v[3:4], s[10:11], v4, 24, v[3:4]
	v_mov_b32_e32 v8, v3
	global_load_dwordx2 v[3:4], v[7:8], off glc
	s_waitcnt vmcnt(0)
	global_atomic_cmpswap_x2 v[8:9], v2, v[3:6], s[2:3] offset:24 glc
	s_waitcnt vmcnt(0)
	buffer_wbinvl1_vol
	v_cmp_eq_u64_e32 vcc, v[8:9], v[5:6]
	s_or_b64 s[8:9], vcc, s[8:9]
	s_andn2_b64 exec, exec, s[8:9]
	s_cbranch_execnz .LBB0_119
; %bb.120:
	s_or_b64 exec, exec, s[8:9]
.LBB0_121:
	s_or_b64 exec, exec, s[6:7]
.LBB0_122:
	s_or_b64 exec, exec, s[4:5]
	v_mov_b32_e32 v2, 0
	global_load_dwordx2 v[10:11], v2, s[2:3] offset:40
	global_load_dwordx4 v[4:7], v2, s[2:3]
	v_readfirstlane_b32 s5, v9
	v_readfirstlane_b32 s4, v8
	s_mov_b64 s[6:7], exec
	s_waitcnt vmcnt(1)
	v_readfirstlane_b32 s8, v10
	v_readfirstlane_b32 s9, v11
	s_and_b64 s[8:9], s[8:9], s[4:5]
	s_mul_i32 s10, s9, 24
	s_mul_hi_u32 s11, s8, 24
	s_mul_i32 s12, s8, 24
	s_add_i32 s10, s11, s10
	v_mov_b32_e32 v3, s10
	s_waitcnt vmcnt(0)
	v_add_co_u32_e32 v8, vcc, s12, v4
	v_addc_co_u32_e32 v9, vcc, v5, v3, vcc
	s_and_saveexec_b64 s[10:11], s[0:1]
	s_cbranch_execz .LBB0_124
; %bb.123:
	v_mov_b32_e32 v11, s7
	v_mov_b32_e32 v10, s6
	;; [unrolled: 1-line block ×4, first 2 shown]
	global_store_dwordx4 v[8:9], v[10:13], off offset:8
.LBB0_124:
	s_or_b64 exec, exec, s[10:11]
	s_lshl_b64 s[6:7], s[8:9], 12
	v_mov_b32_e32 v3, s7
	v_add_co_u32_e32 v6, vcc, s6, v6
	v_addc_co_u32_e32 v7, vcc, v7, v3, vcc
	s_movk_i32 s6, 0xff1d
	v_and_or_b32 v0, v0, s6, 34
	s_mov_b32 s8, 0
	v_mov_b32_e32 v3, v2
	v_readfirstlane_b32 s6, v6
	v_readfirstlane_b32 s7, v7
	s_mov_b32 s9, s8
	s_mov_b32 s10, s8
	;; [unrolled: 1-line block ×3, first 2 shown]
	s_nop 1
	global_store_dwordx4 v29, v[0:3], s[6:7]
	s_nop 0
	v_mov_b32_e32 v0, s8
	v_mov_b32_e32 v1, s9
	;; [unrolled: 1-line block ×4, first 2 shown]
	global_store_dwordx4 v29, v[0:3], s[6:7] offset:16
	global_store_dwordx4 v29, v[0:3], s[6:7] offset:32
	;; [unrolled: 1-line block ×3, first 2 shown]
	s_and_saveexec_b64 s[6:7], s[0:1]
	s_cbranch_execz .LBB0_132
; %bb.125:
	v_mov_b32_e32 v6, 0
	global_load_dwordx2 v[12:13], v6, s[2:3] offset:32 glc
	global_load_dwordx2 v[0:1], v6, s[2:3] offset:40
	v_mov_b32_e32 v10, s4
	v_mov_b32_e32 v11, s5
	s_waitcnt vmcnt(0)
	v_readfirstlane_b32 s8, v0
	v_readfirstlane_b32 s9, v1
	s_and_b64 s[8:9], s[8:9], s[4:5]
	s_mul_i32 s9, s9, 24
	s_mul_hi_u32 s10, s8, 24
	s_mul_i32 s8, s8, 24
	s_add_i32 s9, s10, s9
	v_mov_b32_e32 v0, s9
	v_add_co_u32_e32 v4, vcc, s8, v4
	v_addc_co_u32_e32 v5, vcc, v5, v0, vcc
	global_store_dwordx2 v[4:5], v[12:13], off
	s_waitcnt vmcnt(0)
	global_atomic_cmpswap_x2 v[2:3], v6, v[10:13], s[2:3] offset:32 glc
	s_waitcnt vmcnt(0)
	v_cmp_ne_u64_e32 vcc, v[2:3], v[12:13]
	s_and_saveexec_b64 s[8:9], vcc
	s_cbranch_execz .LBB0_128
; %bb.126:
	s_mov_b64 s[10:11], 0
.LBB0_127:                              ; =>This Inner Loop Header: Depth=1
	s_sleep 1
	global_store_dwordx2 v[4:5], v[2:3], off
	v_mov_b32_e32 v0, s4
	v_mov_b32_e32 v1, s5
	s_waitcnt vmcnt(0)
	global_atomic_cmpswap_x2 v[0:1], v6, v[0:3], s[2:3] offset:32 glc
	s_waitcnt vmcnt(0)
	v_cmp_eq_u64_e32 vcc, v[0:1], v[2:3]
	v_mov_b32_e32 v3, v1
	s_or_b64 s[10:11], vcc, s[10:11]
	v_mov_b32_e32 v2, v0
	s_andn2_b64 exec, exec, s[10:11]
	s_cbranch_execnz .LBB0_127
.LBB0_128:
	s_or_b64 exec, exec, s[8:9]
	v_mov_b32_e32 v3, 0
	global_load_dwordx2 v[0:1], v3, s[2:3] offset:16
	s_mov_b64 s[8:9], exec
	v_mbcnt_lo_u32_b32 v2, s8, 0
	v_mbcnt_hi_u32_b32 v2, s9, v2
	v_cmp_eq_u32_e32 vcc, 0, v2
	s_and_saveexec_b64 s[10:11], vcc
	s_cbranch_execz .LBB0_130
; %bb.129:
	s_bcnt1_i32_b64 s8, s[8:9]
	v_mov_b32_e32 v2, s8
	s_waitcnt vmcnt(0)
	global_atomic_add_x2 v[0:1], v[2:3], off offset:8
.LBB0_130:
	s_or_b64 exec, exec, s[10:11]
	s_waitcnt vmcnt(0)
	global_load_dwordx2 v[2:3], v[0:1], off offset:16
	s_waitcnt vmcnt(0)
	v_cmp_eq_u64_e32 vcc, 0, v[2:3]
	s_cbranch_vccnz .LBB0_132
; %bb.131:
	global_load_dword v0, v[0:1], off offset:24
	v_mov_b32_e32 v1, 0
	s_waitcnt vmcnt(0)
	v_readfirstlane_b32 s8, v0
	s_and_b32 m0, s8, 0xffffff
	global_store_dwordx2 v[2:3], v[0:1], off
	s_sendmsg sendmsg(MSG_INTERRUPT)
.LBB0_132:
	s_or_b64 exec, exec, s[6:7]
	s_branch .LBB0_136
.LBB0_133:                              ;   in Loop: Header=BB0_136 Depth=1
	s_or_b64 exec, exec, s[6:7]
	v_readfirstlane_b32 s6, v0
	s_cmp_eq_u32 s6, 0
	s_cbranch_scc1 .LBB0_135
; %bb.134:                              ;   in Loop: Header=BB0_136 Depth=1
	s_sleep 1
	s_cbranch_execnz .LBB0_136
	s_branch .LBB0_138
.LBB0_135:
	s_branch .LBB0_138
.LBB0_136:                              ; =>This Inner Loop Header: Depth=1
	v_mov_b32_e32 v0, 1
	s_and_saveexec_b64 s[6:7], s[0:1]
	s_cbranch_execz .LBB0_133
; %bb.137:                              ;   in Loop: Header=BB0_136 Depth=1
	global_load_dword v0, v[8:9], off offset:20 glc
	s_waitcnt vmcnt(0)
	buffer_wbinvl1_vol
	v_and_b32_e32 v0, 1, v0
	s_branch .LBB0_133
.LBB0_138:
	s_and_saveexec_b64 s[6:7], s[0:1]
	s_cbranch_execz .LBB0_141
; %bb.139:
	v_mov_b32_e32 v6, 0
	global_load_dwordx2 v[0:1], v6, s[2:3] offset:40
	global_load_dwordx2 v[9:10], v6, s[2:3] offset:24 glc
	global_load_dwordx2 v[2:3], v6, s[2:3]
	s_waitcnt vmcnt(2)
	v_readfirstlane_b32 s6, v0
	v_readfirstlane_b32 s7, v1
	s_add_u32 s8, s6, 1
	s_addc_u32 s9, s7, 0
	s_add_u32 s0, s8, s4
	s_addc_u32 s1, s9, s5
	s_cmp_eq_u64 s[0:1], 0
	s_cselect_b32 s1, s9, s1
	s_cselect_b32 s0, s8, s0
	s_and_b64 s[4:5], s[0:1], s[6:7]
	s_mul_i32 s5, s5, 24
	s_mul_hi_u32 s6, s4, 24
	s_mul_i32 s4, s4, 24
	s_add_i32 s5, s6, s5
	v_mov_b32_e32 v0, s5
	s_waitcnt vmcnt(0)
	v_add_co_u32_e32 v4, vcc, s4, v2
	v_addc_co_u32_e32 v5, vcc, v3, v0, vcc
	v_mov_b32_e32 v7, s0
	global_store_dwordx2 v[4:5], v[9:10], off
	v_mov_b32_e32 v8, s1
	s_waitcnt vmcnt(0)
	global_atomic_cmpswap_x2 v[2:3], v6, v[7:10], s[2:3] offset:24 glc
	s_mov_b64 s[4:5], 0
	s_waitcnt vmcnt(0)
	v_cmp_ne_u64_e32 vcc, v[2:3], v[9:10]
	s_and_b64 exec, exec, vcc
	s_cbranch_execz .LBB0_141
.LBB0_140:                              ; =>This Inner Loop Header: Depth=1
	s_sleep 1
	global_store_dwordx2 v[4:5], v[2:3], off
	v_mov_b32_e32 v0, s0
	v_mov_b32_e32 v1, s1
	s_waitcnt vmcnt(0)
	global_atomic_cmpswap_x2 v[0:1], v6, v[0:3], s[2:3] offset:24 glc
	s_waitcnt vmcnt(0)
	v_cmp_eq_u64_e32 vcc, v[0:1], v[2:3]
	v_mov_b32_e32 v3, v1
	s_or_b64 s[4:5], vcc, s[4:5]
	v_mov_b32_e32 v2, v0
	s_andn2_b64 exec, exec, s[4:5]
	s_cbranch_execnz .LBB0_140
.LBB0_141:
	s_endpgm
	.section	.rodata,"a",@progbits
	.p2align	6, 0x0
	.amdhsa_kernel _ZN2at6native30tinygemm_m16n8k16_chunk_kernelINS0_10ALayout_RMILNS0_14KReductionTypeE0EEENS0_15BLayout_TC_int4ILi2ELi32EEES4_Li8ELi8EEEvPKvS8_S8_Pviiiiii
		.amdhsa_group_segment_fixed_size 0
		.amdhsa_private_segment_fixed_size 0
		.amdhsa_kernarg_size 312
		.amdhsa_user_sgpr_count 6
		.amdhsa_user_sgpr_private_segment_buffer 1
		.amdhsa_user_sgpr_dispatch_ptr 0
		.amdhsa_user_sgpr_queue_ptr 0
		.amdhsa_user_sgpr_kernarg_segment_ptr 1
		.amdhsa_user_sgpr_dispatch_id 0
		.amdhsa_user_sgpr_flat_scratch_init 0
		.amdhsa_user_sgpr_private_segment_size 0
		.amdhsa_uses_dynamic_stack 0
		.amdhsa_system_sgpr_private_segment_wavefront_offset 0
		.amdhsa_system_sgpr_workgroup_id_x 1
		.amdhsa_system_sgpr_workgroup_id_y 0
		.amdhsa_system_sgpr_workgroup_id_z 0
		.amdhsa_system_sgpr_workgroup_info 0
		.amdhsa_system_vgpr_workitem_id 0
		.amdhsa_next_free_vgpr 32
		.amdhsa_next_free_sgpr 19
		.amdhsa_reserve_vcc 1
		.amdhsa_reserve_flat_scratch 0
		.amdhsa_float_round_mode_32 0
		.amdhsa_float_round_mode_16_64 0
		.amdhsa_float_denorm_mode_32 3
		.amdhsa_float_denorm_mode_16_64 3
		.amdhsa_dx10_clamp 1
		.amdhsa_ieee_mode 1
		.amdhsa_fp16_overflow 0
		.amdhsa_exception_fp_ieee_invalid_op 0
		.amdhsa_exception_fp_denorm_src 0
		.amdhsa_exception_fp_ieee_div_zero 0
		.amdhsa_exception_fp_ieee_overflow 0
		.amdhsa_exception_fp_ieee_underflow 0
		.amdhsa_exception_fp_ieee_inexact 0
		.amdhsa_exception_int_div_zero 0
	.end_amdhsa_kernel
	.section	.text._ZN2at6native30tinygemm_m16n8k16_chunk_kernelINS0_10ALayout_RMILNS0_14KReductionTypeE0EEENS0_15BLayout_TC_int4ILi2ELi32EEES4_Li8ELi8EEEvPKvS8_S8_Pviiiiii,"axG",@progbits,_ZN2at6native30tinygemm_m16n8k16_chunk_kernelINS0_10ALayout_RMILNS0_14KReductionTypeE0EEENS0_15BLayout_TC_int4ILi2ELi32EEES4_Li8ELi8EEEvPKvS8_S8_Pviiiiii,comdat
.Lfunc_end0:
	.size	_ZN2at6native30tinygemm_m16n8k16_chunk_kernelINS0_10ALayout_RMILNS0_14KReductionTypeE0EEENS0_15BLayout_TC_int4ILi2ELi32EEES4_Li8ELi8EEEvPKvS8_S8_Pviiiiii, .Lfunc_end0-_ZN2at6native30tinygemm_m16n8k16_chunk_kernelINS0_10ALayout_RMILNS0_14KReductionTypeE0EEENS0_15BLayout_TC_int4ILi2ELi32EEES4_Li8ELi8EEEvPKvS8_S8_Pviiiiii
                                        ; -- End function
	.set _ZN2at6native30tinygemm_m16n8k16_chunk_kernelINS0_10ALayout_RMILNS0_14KReductionTypeE0EEENS0_15BLayout_TC_int4ILi2ELi32EEES4_Li8ELi8EEEvPKvS8_S8_Pviiiiii.num_vgpr, 32
	.set _ZN2at6native30tinygemm_m16n8k16_chunk_kernelINS0_10ALayout_RMILNS0_14KReductionTypeE0EEENS0_15BLayout_TC_int4ILi2ELi32EEES4_Li8ELi8EEEvPKvS8_S8_Pviiiiii.num_agpr, 0
	.set _ZN2at6native30tinygemm_m16n8k16_chunk_kernelINS0_10ALayout_RMILNS0_14KReductionTypeE0EEENS0_15BLayout_TC_int4ILi2ELi32EEES4_Li8ELi8EEEvPKvS8_S8_Pviiiiii.numbered_sgpr, 19
	.set _ZN2at6native30tinygemm_m16n8k16_chunk_kernelINS0_10ALayout_RMILNS0_14KReductionTypeE0EEENS0_15BLayout_TC_int4ILi2ELi32EEES4_Li8ELi8EEEvPKvS8_S8_Pviiiiii.num_named_barrier, 0
	.set _ZN2at6native30tinygemm_m16n8k16_chunk_kernelINS0_10ALayout_RMILNS0_14KReductionTypeE0EEENS0_15BLayout_TC_int4ILi2ELi32EEES4_Li8ELi8EEEvPKvS8_S8_Pviiiiii.private_seg_size, 0
	.set _ZN2at6native30tinygemm_m16n8k16_chunk_kernelINS0_10ALayout_RMILNS0_14KReductionTypeE0EEENS0_15BLayout_TC_int4ILi2ELi32EEES4_Li8ELi8EEEvPKvS8_S8_Pviiiiii.uses_vcc, 1
	.set _ZN2at6native30tinygemm_m16n8k16_chunk_kernelINS0_10ALayout_RMILNS0_14KReductionTypeE0EEENS0_15BLayout_TC_int4ILi2ELi32EEES4_Li8ELi8EEEvPKvS8_S8_Pviiiiii.uses_flat_scratch, 0
	.set _ZN2at6native30tinygemm_m16n8k16_chunk_kernelINS0_10ALayout_RMILNS0_14KReductionTypeE0EEENS0_15BLayout_TC_int4ILi2ELi32EEES4_Li8ELi8EEEvPKvS8_S8_Pviiiiii.has_dyn_sized_stack, 0
	.set _ZN2at6native30tinygemm_m16n8k16_chunk_kernelINS0_10ALayout_RMILNS0_14KReductionTypeE0EEENS0_15BLayout_TC_int4ILi2ELi32EEES4_Li8ELi8EEEvPKvS8_S8_Pviiiiii.has_recursion, 0
	.set _ZN2at6native30tinygemm_m16n8k16_chunk_kernelINS0_10ALayout_RMILNS0_14KReductionTypeE0EEENS0_15BLayout_TC_int4ILi2ELi32EEES4_Li8ELi8EEEvPKvS8_S8_Pviiiiii.has_indirect_call, 0
	.section	.AMDGPU.csdata,"",@progbits
; Kernel info:
; codeLenInByte = 4752
; TotalNumSgprs: 23
; NumVgprs: 32
; ScratchSize: 0
; MemoryBound: 0
; FloatMode: 240
; IeeeMode: 1
; LDSByteSize: 0 bytes/workgroup (compile time only)
; SGPRBlocks: 2
; VGPRBlocks: 7
; NumSGPRsForWavesPerEU: 23
; NumVGPRsForWavesPerEU: 32
; Occupancy: 8
; WaveLimiterHint : 1
; COMPUTE_PGM_RSRC2:SCRATCH_EN: 0
; COMPUTE_PGM_RSRC2:USER_SGPR: 6
; COMPUTE_PGM_RSRC2:TRAP_HANDLER: 0
; COMPUTE_PGM_RSRC2:TGID_X_EN: 1
; COMPUTE_PGM_RSRC2:TGID_Y_EN: 0
; COMPUTE_PGM_RSRC2:TGID_Z_EN: 0
; COMPUTE_PGM_RSRC2:TIDIG_COMP_CNT: 0
	.section	.text._ZN2at6native30tinygemm_m16n8k16_chunk_kernelINS0_10ALayout_RMILNS0_14KReductionTypeE0EEENS0_15BLayout_TC_int4ILi4ELi32EEES4_Li8ELi8EEEvPKvS8_S8_Pviiiiii,"axG",@progbits,_ZN2at6native30tinygemm_m16n8k16_chunk_kernelINS0_10ALayout_RMILNS0_14KReductionTypeE0EEENS0_15BLayout_TC_int4ILi4ELi32EEES4_Li8ELi8EEEvPKvS8_S8_Pviiiiii,comdat
	.protected	_ZN2at6native30tinygemm_m16n8k16_chunk_kernelINS0_10ALayout_RMILNS0_14KReductionTypeE0EEENS0_15BLayout_TC_int4ILi4ELi32EEES4_Li8ELi8EEEvPKvS8_S8_Pviiiiii ; -- Begin function _ZN2at6native30tinygemm_m16n8k16_chunk_kernelINS0_10ALayout_RMILNS0_14KReductionTypeE0EEENS0_15BLayout_TC_int4ILi4ELi32EEES4_Li8ELi8EEEvPKvS8_S8_Pviiiiii
	.globl	_ZN2at6native30tinygemm_m16n8k16_chunk_kernelINS0_10ALayout_RMILNS0_14KReductionTypeE0EEENS0_15BLayout_TC_int4ILi4ELi32EEES4_Li8ELi8EEEvPKvS8_S8_Pviiiiii
	.p2align	8
	.type	_ZN2at6native30tinygemm_m16n8k16_chunk_kernelINS0_10ALayout_RMILNS0_14KReductionTypeE0EEENS0_15BLayout_TC_int4ILi4ELi32EEES4_Li8ELi8EEEvPKvS8_S8_Pviiiiii,@function
_ZN2at6native30tinygemm_m16n8k16_chunk_kernelINS0_10ALayout_RMILNS0_14KReductionTypeE0EEENS0_15BLayout_TC_int4ILi4ELi32EEES4_Li8ELi8EEEvPKvS8_S8_Pviiiiii: ; @_ZN2at6native30tinygemm_m16n8k16_chunk_kernelINS0_10ALayout_RMILNS0_14KReductionTypeE0EEENS0_15BLayout_TC_int4ILi4ELi32EEES4_Li8ELi8EEEvPKvS8_S8_Pviiiiii
; %bb.0:
	s_load_dwordx2 s[2:3], s[4:5], 0x88
	v_mbcnt_lo_u32_b32 v0, -1, 0
	v_mbcnt_hi_u32_b32 v30, -1, v0
	v_readfirstlane_b32 s0, v30
	v_mov_b32_e32 v5, 0
	v_mov_b32_e32 v6, 0
	v_cmp_eq_u32_e64 s[0:1], s0, v30
	s_and_saveexec_b64 s[4:5], s[0:1]
	s_cbranch_execz .LBB1_6
; %bb.1:
	v_mov_b32_e32 v0, 0
	s_waitcnt lgkmcnt(0)
	global_load_dwordx2 v[3:4], v0, s[2:3] offset:24 glc
	s_waitcnt vmcnt(0)
	buffer_wbinvl1_vol
	global_load_dwordx2 v[1:2], v0, s[2:3] offset:40
	global_load_dwordx2 v[5:6], v0, s[2:3]
	s_waitcnt vmcnt(1)
	v_and_b32_e32 v1, v1, v3
	v_and_b32_e32 v2, v2, v4
	v_mul_lo_u32 v2, v2, 24
	v_mul_hi_u32 v7, v1, 24
	v_mul_lo_u32 v1, v1, 24
	v_add_u32_e32 v2, v7, v2
	s_waitcnt vmcnt(0)
	v_add_co_u32_e32 v1, vcc, v5, v1
	v_addc_co_u32_e32 v2, vcc, v6, v2, vcc
	global_load_dwordx2 v[1:2], v[1:2], off glc
	s_waitcnt vmcnt(0)
	global_atomic_cmpswap_x2 v[5:6], v0, v[1:4], s[2:3] offset:24 glc
	s_waitcnt vmcnt(0)
	buffer_wbinvl1_vol
	v_cmp_ne_u64_e32 vcc, v[5:6], v[3:4]
	s_and_saveexec_b64 s[6:7], vcc
	s_cbranch_execz .LBB1_5
; %bb.2:
	s_mov_b64 s[8:9], 0
.LBB1_3:                                ; =>This Inner Loop Header: Depth=1
	s_sleep 1
	global_load_dwordx2 v[1:2], v0, s[2:3] offset:40
	global_load_dwordx2 v[7:8], v0, s[2:3]
	v_mov_b32_e32 v3, v5
	v_mov_b32_e32 v4, v6
	s_waitcnt vmcnt(1)
	v_and_b32_e32 v1, v1, v3
	s_waitcnt vmcnt(0)
	v_mad_u64_u32 v[5:6], s[10:11], v1, 24, v[7:8]
	v_and_b32_e32 v2, v2, v4
	v_mov_b32_e32 v1, v6
	v_mad_u64_u32 v[1:2], s[10:11], v2, 24, v[1:2]
	v_mov_b32_e32 v6, v1
	global_load_dwordx2 v[1:2], v[5:6], off glc
	s_waitcnt vmcnt(0)
	global_atomic_cmpswap_x2 v[5:6], v0, v[1:4], s[2:3] offset:24 glc
	s_waitcnt vmcnt(0)
	buffer_wbinvl1_vol
	v_cmp_eq_u64_e32 vcc, v[5:6], v[3:4]
	s_or_b64 s[8:9], vcc, s[8:9]
	s_andn2_b64 exec, exec, s[8:9]
	s_cbranch_execnz .LBB1_3
; %bb.4:
	s_or_b64 exec, exec, s[8:9]
.LBB1_5:
	s_or_b64 exec, exec, s[6:7]
.LBB1_6:
	s_or_b64 exec, exec, s[4:5]
	v_mov_b32_e32 v4, 0
	s_waitcnt lgkmcnt(0)
	global_load_dwordx2 v[7:8], v4, s[2:3] offset:40
	global_load_dwordx4 v[0:3], v4, s[2:3]
	v_readfirstlane_b32 s5, v6
	v_readfirstlane_b32 s4, v5
	s_mov_b64 s[6:7], exec
	s_waitcnt vmcnt(1)
	v_readfirstlane_b32 s8, v7
	v_readfirstlane_b32 s9, v8
	s_and_b64 s[8:9], s[8:9], s[4:5]
	s_mul_i32 s10, s9, 24
	s_mul_hi_u32 s11, s8, 24
	s_mul_i32 s12, s8, 24
	s_add_i32 s10, s11, s10
	v_mov_b32_e32 v5, s10
	s_waitcnt vmcnt(0)
	v_add_co_u32_e32 v7, vcc, s12, v0
	v_addc_co_u32_e32 v8, vcc, v1, v5, vcc
	s_and_saveexec_b64 s[10:11], s[0:1]
	s_cbranch_execz .LBB1_8
; %bb.7:
	v_mov_b32_e32 v10, s7
	v_mov_b32_e32 v9, s6
	;; [unrolled: 1-line block ×4, first 2 shown]
	global_store_dwordx4 v[7:8], v[9:12], off offset:8
.LBB1_8:
	s_or_b64 exec, exec, s[10:11]
	s_lshl_b64 s[6:7], s[8:9], 12
	v_mov_b32_e32 v5, s7
	v_add_co_u32_e32 v2, vcc, s6, v2
	v_addc_co_u32_e32 v11, vcc, v3, v5, vcc
	v_lshlrev_b32_e32 v29, 6, v30
	s_mov_b32 s8, 0
	v_mov_b32_e32 v3, 33
	v_mov_b32_e32 v5, v4
	;; [unrolled: 1-line block ×3, first 2 shown]
	v_readfirstlane_b32 s6, v2
	v_readfirstlane_b32 s7, v11
	v_add_co_u32_e32 v9, vcc, v2, v29
	s_mov_b32 s9, s8
	s_mov_b32 s10, s8
	s_mov_b32 s11, s8
	s_nop 0
	global_store_dwordx4 v29, v[3:6], s[6:7]
	v_mov_b32_e32 v2, s8
	v_addc_co_u32_e32 v10, vcc, 0, v11, vcc
	v_mov_b32_e32 v3, s9
	v_mov_b32_e32 v4, s10
	;; [unrolled: 1-line block ×3, first 2 shown]
	global_store_dwordx4 v29, v[2:5], s[6:7] offset:16
	global_store_dwordx4 v29, v[2:5], s[6:7] offset:32
	;; [unrolled: 1-line block ×3, first 2 shown]
	s_and_saveexec_b64 s[6:7], s[0:1]
	s_cbranch_execz .LBB1_16
; %bb.9:
	v_mov_b32_e32 v6, 0
	global_load_dwordx2 v[13:14], v6, s[2:3] offset:32 glc
	global_load_dwordx2 v[2:3], v6, s[2:3] offset:40
	v_mov_b32_e32 v11, s4
	v_mov_b32_e32 v12, s5
	s_waitcnt vmcnt(0)
	v_and_b32_e32 v2, s4, v2
	v_and_b32_e32 v3, s5, v3
	v_mul_lo_u32 v3, v3, 24
	v_mul_hi_u32 v4, v2, 24
	v_mul_lo_u32 v2, v2, 24
	v_add_u32_e32 v3, v4, v3
	v_add_co_u32_e32 v4, vcc, v0, v2
	v_addc_co_u32_e32 v5, vcc, v1, v3, vcc
	global_store_dwordx2 v[4:5], v[13:14], off
	s_waitcnt vmcnt(0)
	global_atomic_cmpswap_x2 v[2:3], v6, v[11:14], s[2:3] offset:32 glc
	s_waitcnt vmcnt(0)
	v_cmp_ne_u64_e32 vcc, v[2:3], v[13:14]
	s_and_saveexec_b64 s[8:9], vcc
	s_cbranch_execz .LBB1_12
; %bb.10:
	s_mov_b64 s[10:11], 0
.LBB1_11:                               ; =>This Inner Loop Header: Depth=1
	s_sleep 1
	global_store_dwordx2 v[4:5], v[2:3], off
	v_mov_b32_e32 v0, s4
	v_mov_b32_e32 v1, s5
	s_waitcnt vmcnt(0)
	global_atomic_cmpswap_x2 v[0:1], v6, v[0:3], s[2:3] offset:32 glc
	s_waitcnt vmcnt(0)
	v_cmp_eq_u64_e32 vcc, v[0:1], v[2:3]
	v_mov_b32_e32 v3, v1
	s_or_b64 s[10:11], vcc, s[10:11]
	v_mov_b32_e32 v2, v0
	s_andn2_b64 exec, exec, s[10:11]
	s_cbranch_execnz .LBB1_11
.LBB1_12:
	s_or_b64 exec, exec, s[8:9]
	v_mov_b32_e32 v3, 0
	global_load_dwordx2 v[0:1], v3, s[2:3] offset:16
	s_mov_b64 s[8:9], exec
	v_mbcnt_lo_u32_b32 v2, s8, 0
	v_mbcnt_hi_u32_b32 v2, s9, v2
	v_cmp_eq_u32_e32 vcc, 0, v2
	s_and_saveexec_b64 s[10:11], vcc
	s_cbranch_execz .LBB1_14
; %bb.13:
	s_bcnt1_i32_b64 s8, s[8:9]
	v_mov_b32_e32 v2, s8
	s_waitcnt vmcnt(0)
	global_atomic_add_x2 v[0:1], v[2:3], off offset:8
.LBB1_14:
	s_or_b64 exec, exec, s[10:11]
	s_waitcnt vmcnt(0)
	global_load_dwordx2 v[2:3], v[0:1], off offset:16
	s_waitcnt vmcnt(0)
	v_cmp_eq_u64_e32 vcc, 0, v[2:3]
	s_cbranch_vccnz .LBB1_16
; %bb.15:
	global_load_dword v0, v[0:1], off offset:24
	v_mov_b32_e32 v1, 0
	s_waitcnt vmcnt(0)
	v_readfirstlane_b32 s8, v0
	s_and_b32 m0, s8, 0xffffff
	global_store_dwordx2 v[2:3], v[0:1], off
	s_sendmsg sendmsg(MSG_INTERRUPT)
.LBB1_16:
	s_or_b64 exec, exec, s[6:7]
	s_branch .LBB1_20
.LBB1_17:                               ;   in Loop: Header=BB1_20 Depth=1
	s_or_b64 exec, exec, s[6:7]
	v_readfirstlane_b32 s6, v0
	s_cmp_eq_u32 s6, 0
	s_cbranch_scc1 .LBB1_19
; %bb.18:                               ;   in Loop: Header=BB1_20 Depth=1
	s_sleep 1
	s_cbranch_execnz .LBB1_20
	s_branch .LBB1_22
.LBB1_19:
	s_branch .LBB1_22
.LBB1_20:                               ; =>This Inner Loop Header: Depth=1
	v_mov_b32_e32 v0, 1
	s_and_saveexec_b64 s[6:7], s[0:1]
	s_cbranch_execz .LBB1_17
; %bb.21:                               ;   in Loop: Header=BB1_20 Depth=1
	global_load_dword v0, v[7:8], off offset:20 glc
	s_waitcnt vmcnt(0)
	buffer_wbinvl1_vol
	v_and_b32_e32 v0, 1, v0
	s_branch .LBB1_17
.LBB1_22:
	global_load_dwordx2 v[0:1], v[9:10], off
	s_and_saveexec_b64 s[6:7], s[0:1]
	s_cbranch_execz .LBB1_25
; %bb.23:
	v_mov_b32_e32 v8, 0
	global_load_dwordx2 v[2:3], v8, s[2:3] offset:40
	global_load_dwordx2 v[11:12], v8, s[2:3] offset:24 glc
	global_load_dwordx2 v[4:5], v8, s[2:3]
	s_waitcnt vmcnt(2)
	v_readfirstlane_b32 s8, v2
	v_readfirstlane_b32 s9, v3
	s_add_u32 s10, s8, 1
	s_addc_u32 s11, s9, 0
	s_add_u32 s0, s10, s4
	s_addc_u32 s1, s11, s5
	s_cmp_eq_u64 s[0:1], 0
	s_cselect_b32 s1, s11, s1
	s_cselect_b32 s0, s10, s0
	s_and_b64 s[4:5], s[0:1], s[8:9]
	s_mul_i32 s5, s5, 24
	s_mul_hi_u32 s8, s4, 24
	s_mul_i32 s4, s4, 24
	s_add_i32 s5, s8, s5
	v_mov_b32_e32 v2, s5
	s_waitcnt vmcnt(0)
	v_add_co_u32_e32 v6, vcc, s4, v4
	v_addc_co_u32_e32 v7, vcc, v5, v2, vcc
	v_mov_b32_e32 v9, s0
	global_store_dwordx2 v[6:7], v[11:12], off
	v_mov_b32_e32 v10, s1
	s_waitcnt vmcnt(0)
	global_atomic_cmpswap_x2 v[4:5], v8, v[9:12], s[2:3] offset:24 glc
	s_mov_b64 s[4:5], 0
	s_waitcnt vmcnt(0)
	v_cmp_ne_u64_e32 vcc, v[4:5], v[11:12]
	s_and_b64 exec, exec, vcc
	s_cbranch_execz .LBB1_25
.LBB1_24:                               ; =>This Inner Loop Header: Depth=1
	s_sleep 1
	global_store_dwordx2 v[6:7], v[4:5], off
	v_mov_b32_e32 v2, s0
	v_mov_b32_e32 v3, s1
	s_waitcnt vmcnt(0)
	global_atomic_cmpswap_x2 v[2:3], v8, v[2:5], s[2:3] offset:24 glc
	s_waitcnt vmcnt(0)
	v_cmp_eq_u64_e32 vcc, v[2:3], v[4:5]
	v_mov_b32_e32 v5, v3
	s_or_b64 s[4:5], vcc, s[4:5]
	v_mov_b32_e32 v4, v2
	s_andn2_b64 exec, exec, s[4:5]
	s_cbranch_execnz .LBB1_24
.LBB1_25:
	s_or_b64 exec, exec, s[6:7]
	s_getpc_b64 s[4:5]
	s_add_u32 s4, s4, .str@rel32@lo+4
	s_addc_u32 s5, s5, .str@rel32@hi+12
	s_cmp_lg_u64 s[4:5], 0
	s_cselect_b64 s[0:1], -1, 0
	s_cmp_eq_u64 s[4:5], 0
	s_mov_b64 s[4:5], 0
	s_cbranch_scc1 .LBB1_29
; %bb.26:
	v_mov_b32_e32 v2, 0
	s_getpc_b64 s[4:5]
	s_add_u32 s4, s4, .str@rel32@lo+3
	s_addc_u32 s5, s5, .str@rel32@hi+11
.LBB1_27:                               ; =>This Inner Loop Header: Depth=1
	global_load_ubyte v3, v2, s[4:5] offset:1
	s_add_u32 s6, s4, 1
	s_addc_u32 s7, s5, 0
	s_mov_b64 s[4:5], s[6:7]
	s_waitcnt vmcnt(0)
	v_cmp_ne_u32_e32 vcc, 0, v3
	s_cbranch_vccnz .LBB1_27
; %bb.28:
	s_getpc_b64 s[4:5]
	s_add_u32 s4, s4, .str@rel32@lo+4
	s_addc_u32 s5, s5, .str@rel32@hi+12
	s_sub_u32 s4, s6, s4
	s_subb_u32 s5, s7, s5
	s_add_u32 s4, s4, 1
	s_addc_u32 s5, s5, 0
.LBB1_29:
	s_and_b64 vcc, exec, s[0:1]
	s_cbranch_vccz .LBB1_115
; %bb.30:
	s_waitcnt vmcnt(0)
	v_and_b32_e32 v6, -3, v0
	v_mov_b32_e32 v7, v1
	v_mov_b32_e32 v26, 0
	;; [unrolled: 1-line block ×4, first 2 shown]
	s_getpc_b64 s[6:7]
	s_add_u32 s6, s6, .str@rel32@lo+4
	s_addc_u32 s7, s7, .str@rel32@hi+12
	s_branch .LBB1_32
.LBB1_31:                               ;   in Loop: Header=BB1_32 Depth=1
	s_or_b64 exec, exec, s[12:13]
	s_sub_u32 s4, s4, s8
	s_subb_u32 s5, s5, s9
	s_add_u32 s6, s6, s8
	s_addc_u32 s7, s7, s9
	s_cmp_lg_u64 s[4:5], 0
	s_cbranch_scc0 .LBB1_114
.LBB1_32:                               ; =>This Loop Header: Depth=1
                                        ;     Child Loop BB1_35 Depth 2
                                        ;     Child Loop BB1_43 Depth 2
	;; [unrolled: 1-line block ×11, first 2 shown]
	v_cmp_lt_u64_e64 s[0:1], s[4:5], 56
	v_cmp_gt_u64_e64 s[10:11], s[4:5], 7
	s_and_b64 s[0:1], s[0:1], exec
	s_cselect_b32 s9, s5, 0
	s_cselect_b32 s8, s4, 56
	s_add_u32 s0, s6, 8
	s_addc_u32 s1, s7, 0
	s_and_b64 vcc, exec, s[10:11]
	s_cbranch_vccnz .LBB1_36
; %bb.33:                               ;   in Loop: Header=BB1_32 Depth=1
	s_cmp_eq_u64 s[4:5], 0
	s_cbranch_scc1 .LBB1_37
; %bb.34:                               ;   in Loop: Header=BB1_32 Depth=1
	s_waitcnt vmcnt(0)
	v_mov_b32_e32 v8, 0
	s_lshl_b64 s[0:1], s[8:9], 3
	s_mov_b64 s[10:11], 0
	v_mov_b32_e32 v9, 0
	s_mov_b64 s[12:13], s[6:7]
.LBB1_35:                               ;   Parent Loop BB1_32 Depth=1
                                        ; =>  This Inner Loop Header: Depth=2
	global_load_ubyte v2, v26, s[12:13]
	s_waitcnt vmcnt(0)
	v_and_b32_e32 v25, 0xffff, v2
	v_lshlrev_b64 v[2:3], s10, v[25:26]
	s_add_u32 s10, s10, 8
	s_addc_u32 s11, s11, 0
	s_add_u32 s12, s12, 1
	s_addc_u32 s13, s13, 0
	v_or_b32_e32 v8, v2, v8
	s_cmp_lg_u32 s0, s10
	v_or_b32_e32 v9, v3, v9
	s_cbranch_scc1 .LBB1_35
	s_branch .LBB1_38
.LBB1_36:                               ;   in Loop: Header=BB1_32 Depth=1
	s_mov_b32 s14, 0
	s_branch .LBB1_39
.LBB1_37:                               ;   in Loop: Header=BB1_32 Depth=1
	s_waitcnt vmcnt(0)
	v_mov_b32_e32 v8, 0
	v_mov_b32_e32 v9, 0
.LBB1_38:                               ;   in Loop: Header=BB1_32 Depth=1
	s_mov_b64 s[0:1], s[6:7]
	s_mov_b32 s14, 0
	s_cbranch_execnz .LBB1_40
.LBB1_39:                               ;   in Loop: Header=BB1_32 Depth=1
	global_load_dwordx2 v[8:9], v26, s[6:7]
	s_add_i32 s14, s8, -8
.LBB1_40:                               ;   in Loop: Header=BB1_32 Depth=1
	s_add_u32 s10, s0, 8
	s_addc_u32 s11, s1, 0
	s_cmp_gt_u32 s14, 7
	s_cbranch_scc1 .LBB1_44
; %bb.41:                               ;   in Loop: Header=BB1_32 Depth=1
	s_cmp_eq_u32 s14, 0
	s_cbranch_scc1 .LBB1_45
; %bb.42:                               ;   in Loop: Header=BB1_32 Depth=1
	v_mov_b32_e32 v10, 0
	s_mov_b64 s[10:11], 0
	v_mov_b32_e32 v11, 0
	s_mov_b64 s[12:13], 0
.LBB1_43:                               ;   Parent Loop BB1_32 Depth=1
                                        ; =>  This Inner Loop Header: Depth=2
	s_add_u32 s16, s0, s12
	s_addc_u32 s17, s1, s13
	global_load_ubyte v2, v26, s[16:17]
	s_add_u32 s12, s12, 1
	s_addc_u32 s13, s13, 0
	s_waitcnt vmcnt(0)
	v_and_b32_e32 v25, 0xffff, v2
	v_lshlrev_b64 v[2:3], s10, v[25:26]
	s_add_u32 s10, s10, 8
	s_addc_u32 s11, s11, 0
	v_or_b32_e32 v10, v2, v10
	s_cmp_lg_u32 s14, s12
	v_or_b32_e32 v11, v3, v11
	s_cbranch_scc1 .LBB1_43
	s_branch .LBB1_46
.LBB1_44:                               ;   in Loop: Header=BB1_32 Depth=1
                                        ; implicit-def: $vgpr10_vgpr11
	s_mov_b32 s15, 0
	s_branch .LBB1_47
.LBB1_45:                               ;   in Loop: Header=BB1_32 Depth=1
	v_mov_b32_e32 v10, 0
	v_mov_b32_e32 v11, 0
.LBB1_46:                               ;   in Loop: Header=BB1_32 Depth=1
	s_mov_b64 s[10:11], s[0:1]
	s_mov_b32 s15, 0
	s_cbranch_execnz .LBB1_48
.LBB1_47:                               ;   in Loop: Header=BB1_32 Depth=1
	global_load_dwordx2 v[10:11], v26, s[0:1]
	s_add_i32 s15, s14, -8
.LBB1_48:                               ;   in Loop: Header=BB1_32 Depth=1
	s_add_u32 s0, s10, 8
	s_addc_u32 s1, s11, 0
	s_cmp_gt_u32 s15, 7
	s_cbranch_scc1 .LBB1_52
; %bb.49:                               ;   in Loop: Header=BB1_32 Depth=1
	s_cmp_eq_u32 s15, 0
	s_cbranch_scc1 .LBB1_53
; %bb.50:                               ;   in Loop: Header=BB1_32 Depth=1
	v_mov_b32_e32 v12, 0
	s_mov_b64 s[0:1], 0
	v_mov_b32_e32 v13, 0
	s_mov_b64 s[12:13], 0
.LBB1_51:                               ;   Parent Loop BB1_32 Depth=1
                                        ; =>  This Inner Loop Header: Depth=2
	s_add_u32 s16, s10, s12
	s_addc_u32 s17, s11, s13
	global_load_ubyte v2, v26, s[16:17]
	s_add_u32 s12, s12, 1
	s_addc_u32 s13, s13, 0
	s_waitcnt vmcnt(0)
	v_and_b32_e32 v25, 0xffff, v2
	v_lshlrev_b64 v[2:3], s0, v[25:26]
	s_add_u32 s0, s0, 8
	s_addc_u32 s1, s1, 0
	v_or_b32_e32 v12, v2, v12
	s_cmp_lg_u32 s15, s12
	v_or_b32_e32 v13, v3, v13
	s_cbranch_scc1 .LBB1_51
	s_branch .LBB1_54
.LBB1_52:                               ;   in Loop: Header=BB1_32 Depth=1
	s_mov_b32 s14, 0
	s_branch .LBB1_55
.LBB1_53:                               ;   in Loop: Header=BB1_32 Depth=1
	v_mov_b32_e32 v12, 0
	v_mov_b32_e32 v13, 0
.LBB1_54:                               ;   in Loop: Header=BB1_32 Depth=1
	s_mov_b64 s[0:1], s[10:11]
	s_mov_b32 s14, 0
	s_cbranch_execnz .LBB1_56
.LBB1_55:                               ;   in Loop: Header=BB1_32 Depth=1
	global_load_dwordx2 v[12:13], v26, s[10:11]
	s_add_i32 s14, s15, -8
.LBB1_56:                               ;   in Loop: Header=BB1_32 Depth=1
	s_add_u32 s10, s0, 8
	s_addc_u32 s11, s1, 0
	s_cmp_gt_u32 s14, 7
	s_cbranch_scc1 .LBB1_60
; %bb.57:                               ;   in Loop: Header=BB1_32 Depth=1
	s_cmp_eq_u32 s14, 0
	s_cbranch_scc1 .LBB1_61
; %bb.58:                               ;   in Loop: Header=BB1_32 Depth=1
	v_mov_b32_e32 v14, 0
	s_mov_b64 s[10:11], 0
	v_mov_b32_e32 v15, 0
	s_mov_b64 s[12:13], 0
.LBB1_59:                               ;   Parent Loop BB1_32 Depth=1
                                        ; =>  This Inner Loop Header: Depth=2
	s_add_u32 s16, s0, s12
	s_addc_u32 s17, s1, s13
	global_load_ubyte v2, v26, s[16:17]
	s_add_u32 s12, s12, 1
	s_addc_u32 s13, s13, 0
	s_waitcnt vmcnt(0)
	v_and_b32_e32 v25, 0xffff, v2
	v_lshlrev_b64 v[2:3], s10, v[25:26]
	s_add_u32 s10, s10, 8
	s_addc_u32 s11, s11, 0
	v_or_b32_e32 v14, v2, v14
	s_cmp_lg_u32 s14, s12
	v_or_b32_e32 v15, v3, v15
	s_cbranch_scc1 .LBB1_59
	s_branch .LBB1_62
.LBB1_60:                               ;   in Loop: Header=BB1_32 Depth=1
                                        ; implicit-def: $vgpr14_vgpr15
	s_mov_b32 s15, 0
	s_branch .LBB1_63
.LBB1_61:                               ;   in Loop: Header=BB1_32 Depth=1
	v_mov_b32_e32 v14, 0
	v_mov_b32_e32 v15, 0
.LBB1_62:                               ;   in Loop: Header=BB1_32 Depth=1
	s_mov_b64 s[10:11], s[0:1]
	s_mov_b32 s15, 0
	s_cbranch_execnz .LBB1_64
.LBB1_63:                               ;   in Loop: Header=BB1_32 Depth=1
	global_load_dwordx2 v[14:15], v26, s[0:1]
	s_add_i32 s15, s14, -8
.LBB1_64:                               ;   in Loop: Header=BB1_32 Depth=1
	s_add_u32 s0, s10, 8
	s_addc_u32 s1, s11, 0
	s_cmp_gt_u32 s15, 7
	s_cbranch_scc1 .LBB1_68
; %bb.65:                               ;   in Loop: Header=BB1_32 Depth=1
	s_cmp_eq_u32 s15, 0
	s_cbranch_scc1 .LBB1_69
; %bb.66:                               ;   in Loop: Header=BB1_32 Depth=1
	v_mov_b32_e32 v16, 0
	s_mov_b64 s[0:1], 0
	v_mov_b32_e32 v17, 0
	s_mov_b64 s[12:13], 0
.LBB1_67:                               ;   Parent Loop BB1_32 Depth=1
                                        ; =>  This Inner Loop Header: Depth=2
	s_add_u32 s16, s10, s12
	s_addc_u32 s17, s11, s13
	global_load_ubyte v2, v26, s[16:17]
	s_add_u32 s12, s12, 1
	s_addc_u32 s13, s13, 0
	s_waitcnt vmcnt(0)
	v_and_b32_e32 v25, 0xffff, v2
	v_lshlrev_b64 v[2:3], s0, v[25:26]
	s_add_u32 s0, s0, 8
	s_addc_u32 s1, s1, 0
	v_or_b32_e32 v16, v2, v16
	s_cmp_lg_u32 s15, s12
	v_or_b32_e32 v17, v3, v17
	s_cbranch_scc1 .LBB1_67
	s_branch .LBB1_70
.LBB1_68:                               ;   in Loop: Header=BB1_32 Depth=1
	s_mov_b32 s14, 0
	s_branch .LBB1_71
.LBB1_69:                               ;   in Loop: Header=BB1_32 Depth=1
	v_mov_b32_e32 v16, 0
	v_mov_b32_e32 v17, 0
.LBB1_70:                               ;   in Loop: Header=BB1_32 Depth=1
	s_mov_b64 s[0:1], s[10:11]
	s_mov_b32 s14, 0
	s_cbranch_execnz .LBB1_72
.LBB1_71:                               ;   in Loop: Header=BB1_32 Depth=1
	global_load_dwordx2 v[16:17], v26, s[10:11]
	s_add_i32 s14, s15, -8
.LBB1_72:                               ;   in Loop: Header=BB1_32 Depth=1
	s_add_u32 s10, s0, 8
	s_addc_u32 s11, s1, 0
	s_cmp_gt_u32 s14, 7
	s_cbranch_scc1 .LBB1_76
; %bb.73:                               ;   in Loop: Header=BB1_32 Depth=1
	s_cmp_eq_u32 s14, 0
	s_cbranch_scc1 .LBB1_77
; %bb.74:                               ;   in Loop: Header=BB1_32 Depth=1
	v_mov_b32_e32 v18, 0
	s_mov_b64 s[10:11], 0
	v_mov_b32_e32 v19, 0
	s_mov_b64 s[12:13], 0
.LBB1_75:                               ;   Parent Loop BB1_32 Depth=1
                                        ; =>  This Inner Loop Header: Depth=2
	s_add_u32 s16, s0, s12
	s_addc_u32 s17, s1, s13
	global_load_ubyte v2, v26, s[16:17]
	s_add_u32 s12, s12, 1
	s_addc_u32 s13, s13, 0
	s_waitcnt vmcnt(0)
	v_and_b32_e32 v25, 0xffff, v2
	v_lshlrev_b64 v[2:3], s10, v[25:26]
	s_add_u32 s10, s10, 8
	s_addc_u32 s11, s11, 0
	v_or_b32_e32 v18, v2, v18
	s_cmp_lg_u32 s14, s12
	v_or_b32_e32 v19, v3, v19
	s_cbranch_scc1 .LBB1_75
	s_branch .LBB1_78
.LBB1_76:                               ;   in Loop: Header=BB1_32 Depth=1
                                        ; implicit-def: $vgpr18_vgpr19
	s_mov_b32 s15, 0
	s_branch .LBB1_79
.LBB1_77:                               ;   in Loop: Header=BB1_32 Depth=1
	v_mov_b32_e32 v18, 0
	v_mov_b32_e32 v19, 0
.LBB1_78:                               ;   in Loop: Header=BB1_32 Depth=1
	s_mov_b64 s[10:11], s[0:1]
	s_mov_b32 s15, 0
	s_cbranch_execnz .LBB1_80
.LBB1_79:                               ;   in Loop: Header=BB1_32 Depth=1
	global_load_dwordx2 v[18:19], v26, s[0:1]
	s_add_i32 s15, s14, -8
.LBB1_80:                               ;   in Loop: Header=BB1_32 Depth=1
	s_cmp_gt_u32 s15, 7
	s_cbranch_scc1 .LBB1_84
; %bb.81:                               ;   in Loop: Header=BB1_32 Depth=1
	s_cmp_eq_u32 s15, 0
	s_cbranch_scc1 .LBB1_85
; %bb.82:                               ;   in Loop: Header=BB1_32 Depth=1
	v_mov_b32_e32 v20, 0
	s_mov_b64 s[0:1], 0
	v_mov_b32_e32 v21, 0
	s_mov_b64 s[12:13], s[10:11]
.LBB1_83:                               ;   Parent Loop BB1_32 Depth=1
                                        ; =>  This Inner Loop Header: Depth=2
	global_load_ubyte v2, v26, s[12:13]
	s_add_i32 s15, s15, -1
	s_waitcnt vmcnt(0)
	v_and_b32_e32 v25, 0xffff, v2
	v_lshlrev_b64 v[2:3], s0, v[25:26]
	s_add_u32 s0, s0, 8
	s_addc_u32 s1, s1, 0
	s_add_u32 s12, s12, 1
	s_addc_u32 s13, s13, 0
	v_or_b32_e32 v20, v2, v20
	s_cmp_lg_u32 s15, 0
	v_or_b32_e32 v21, v3, v21
	s_cbranch_scc1 .LBB1_83
	s_branch .LBB1_86
.LBB1_84:                               ;   in Loop: Header=BB1_32 Depth=1
	s_branch .LBB1_87
.LBB1_85:                               ;   in Loop: Header=BB1_32 Depth=1
	v_mov_b32_e32 v20, 0
	v_mov_b32_e32 v21, 0
.LBB1_86:                               ;   in Loop: Header=BB1_32 Depth=1
	s_cbranch_execnz .LBB1_88
.LBB1_87:                               ;   in Loop: Header=BB1_32 Depth=1
	global_load_dwordx2 v[20:21], v26, s[10:11]
.LBB1_88:                               ;   in Loop: Header=BB1_32 Depth=1
	v_readfirstlane_b32 s0, v30
	v_mov_b32_e32 v2, 0
	v_mov_b32_e32 v3, 0
	v_cmp_eq_u32_e64 s[0:1], s0, v30
	s_and_saveexec_b64 s[10:11], s[0:1]
	s_cbranch_execz .LBB1_94
; %bb.89:                               ;   in Loop: Header=BB1_32 Depth=1
	global_load_dwordx2 v[24:25], v26, s[2:3] offset:24 glc
	s_waitcnt vmcnt(0)
	buffer_wbinvl1_vol
	global_load_dwordx2 v[2:3], v26, s[2:3] offset:40
	global_load_dwordx2 v[22:23], v26, s[2:3]
	s_waitcnt vmcnt(1)
	v_and_b32_e32 v2, v2, v24
	v_and_b32_e32 v3, v3, v25
	v_mul_lo_u32 v3, v3, 24
	v_mul_hi_u32 v27, v2, 24
	v_mul_lo_u32 v2, v2, 24
	v_add_u32_e32 v3, v27, v3
	s_waitcnt vmcnt(0)
	v_add_co_u32_e32 v2, vcc, v22, v2
	v_addc_co_u32_e32 v3, vcc, v23, v3, vcc
	global_load_dwordx2 v[22:23], v[2:3], off glc
	s_waitcnt vmcnt(0)
	global_atomic_cmpswap_x2 v[2:3], v26, v[22:25], s[2:3] offset:24 glc
	s_waitcnt vmcnt(0)
	buffer_wbinvl1_vol
	v_cmp_ne_u64_e32 vcc, v[2:3], v[24:25]
	s_and_saveexec_b64 s[12:13], vcc
	s_cbranch_execz .LBB1_93
; %bb.90:                               ;   in Loop: Header=BB1_32 Depth=1
	s_mov_b64 s[14:15], 0
.LBB1_91:                               ;   Parent Loop BB1_32 Depth=1
                                        ; =>  This Inner Loop Header: Depth=2
	s_sleep 1
	global_load_dwordx2 v[22:23], v26, s[2:3] offset:40
	global_load_dwordx2 v[27:28], v26, s[2:3]
	v_mov_b32_e32 v25, v3
	v_mov_b32_e32 v24, v2
	s_waitcnt vmcnt(1)
	v_and_b32_e32 v2, v22, v24
	s_waitcnt vmcnt(0)
	v_mad_u64_u32 v[2:3], s[16:17], v2, 24, v[27:28]
	v_and_b32_e32 v22, v23, v25
	v_mad_u64_u32 v[22:23], s[16:17], v22, 24, v[3:4]
	v_mov_b32_e32 v3, v22
	global_load_dwordx2 v[22:23], v[2:3], off glc
	s_waitcnt vmcnt(0)
	global_atomic_cmpswap_x2 v[2:3], v26, v[22:25], s[2:3] offset:24 glc
	s_waitcnt vmcnt(0)
	buffer_wbinvl1_vol
	v_cmp_eq_u64_e32 vcc, v[2:3], v[24:25]
	s_or_b64 s[14:15], vcc, s[14:15]
	s_andn2_b64 exec, exec, s[14:15]
	s_cbranch_execnz .LBB1_91
; %bb.92:                               ;   in Loop: Header=BB1_32 Depth=1
	s_or_b64 exec, exec, s[14:15]
.LBB1_93:                               ;   in Loop: Header=BB1_32 Depth=1
	s_or_b64 exec, exec, s[12:13]
.LBB1_94:                               ;   in Loop: Header=BB1_32 Depth=1
	s_or_b64 exec, exec, s[10:11]
	global_load_dwordx2 v[27:28], v26, s[2:3] offset:40
	global_load_dwordx4 v[22:25], v26, s[2:3]
	v_readfirstlane_b32 s11, v3
	v_readfirstlane_b32 s10, v2
	s_mov_b64 s[12:13], exec
	s_waitcnt vmcnt(1)
	v_readfirstlane_b32 s14, v27
	v_readfirstlane_b32 s15, v28
	s_and_b64 s[14:15], s[14:15], s[10:11]
	s_mul_i32 s16, s15, 24
	s_mul_hi_u32 s17, s14, 24
	s_mul_i32 s18, s14, 24
	s_add_i32 s16, s17, s16
	v_mov_b32_e32 v2, s16
	s_waitcnt vmcnt(0)
	v_add_co_u32_e32 v27, vcc, s18, v22
	v_addc_co_u32_e32 v28, vcc, v23, v2, vcc
	s_and_saveexec_b64 s[16:17], s[0:1]
	s_cbranch_execz .LBB1_96
; %bb.95:                               ;   in Loop: Header=BB1_32 Depth=1
	v_mov_b32_e32 v2, s12
	v_mov_b32_e32 v3, s13
	global_store_dwordx4 v[27:28], v[2:5], off offset:8
.LBB1_96:                               ;   in Loop: Header=BB1_32 Depth=1
	s_or_b64 exec, exec, s[16:17]
	s_lshl_b64 s[12:13], s[14:15], 12
	v_cmp_gt_u64_e64 s[14:15], s[4:5], 56
	v_mov_b32_e32 v2, s13
	v_add_co_u32_e32 v24, vcc, s12, v24
	s_and_b64 s[12:13], s[14:15], exec
	s_cselect_b32 s12, 0, 2
	s_lshl_b32 s13, s8, 2
	v_addc_co_u32_e32 v31, vcc, v25, v2, vcc
	s_add_i32 s13, s13, 28
	v_and_b32_e32 v2, 0xffffff1f, v6
	s_and_b32 s13, s13, 0x1e0
	v_or_b32_e32 v2, s12, v2
	v_or_b32_e32 v6, s13, v2
	v_readfirstlane_b32 s12, v24
	v_readfirstlane_b32 s13, v31
	s_nop 4
	global_store_dwordx4 v29, v[6:9], s[12:13]
	global_store_dwordx4 v29, v[10:13], s[12:13] offset:16
	global_store_dwordx4 v29, v[14:17], s[12:13] offset:32
	;; [unrolled: 1-line block ×3, first 2 shown]
	s_and_saveexec_b64 s[12:13], s[0:1]
	s_cbranch_execz .LBB1_104
; %bb.97:                               ;   in Loop: Header=BB1_32 Depth=1
	global_load_dwordx2 v[10:11], v26, s[2:3] offset:32 glc
	global_load_dwordx2 v[2:3], v26, s[2:3] offset:40
	v_mov_b32_e32 v8, s10
	v_mov_b32_e32 v9, s11
	s_waitcnt vmcnt(0)
	v_readfirstlane_b32 s14, v2
	v_readfirstlane_b32 s15, v3
	s_and_b64 s[14:15], s[14:15], s[10:11]
	s_mul_i32 s15, s15, 24
	s_mul_hi_u32 s16, s14, 24
	s_mul_i32 s14, s14, 24
	s_add_i32 s15, s16, s15
	v_mov_b32_e32 v3, s15
	v_add_co_u32_e32 v2, vcc, s14, v22
	v_addc_co_u32_e32 v3, vcc, v23, v3, vcc
	global_store_dwordx2 v[2:3], v[10:11], off
	s_waitcnt vmcnt(0)
	global_atomic_cmpswap_x2 v[8:9], v26, v[8:11], s[2:3] offset:32 glc
	s_waitcnt vmcnt(0)
	v_cmp_ne_u64_e32 vcc, v[8:9], v[10:11]
	s_and_saveexec_b64 s[14:15], vcc
	s_cbranch_execz .LBB1_100
; %bb.98:                               ;   in Loop: Header=BB1_32 Depth=1
	s_mov_b64 s[16:17], 0
.LBB1_99:                               ;   Parent Loop BB1_32 Depth=1
                                        ; =>  This Inner Loop Header: Depth=2
	s_sleep 1
	global_store_dwordx2 v[2:3], v[8:9], off
	v_mov_b32_e32 v6, s10
	v_mov_b32_e32 v7, s11
	s_waitcnt vmcnt(0)
	global_atomic_cmpswap_x2 v[6:7], v26, v[6:9], s[2:3] offset:32 glc
	s_waitcnt vmcnt(0)
	v_cmp_eq_u64_e32 vcc, v[6:7], v[8:9]
	v_mov_b32_e32 v9, v7
	s_or_b64 s[16:17], vcc, s[16:17]
	v_mov_b32_e32 v8, v6
	s_andn2_b64 exec, exec, s[16:17]
	s_cbranch_execnz .LBB1_99
.LBB1_100:                              ;   in Loop: Header=BB1_32 Depth=1
	s_or_b64 exec, exec, s[14:15]
	global_load_dwordx2 v[2:3], v26, s[2:3] offset:16
	s_mov_b64 s[16:17], exec
	v_mbcnt_lo_u32_b32 v6, s16, 0
	v_mbcnt_hi_u32_b32 v6, s17, v6
	v_cmp_eq_u32_e32 vcc, 0, v6
	s_and_saveexec_b64 s[14:15], vcc
	s_cbranch_execz .LBB1_102
; %bb.101:                              ;   in Loop: Header=BB1_32 Depth=1
	s_bcnt1_i32_b64 s16, s[16:17]
	v_mov_b32_e32 v25, s16
	s_waitcnt vmcnt(0)
	global_atomic_add_x2 v[2:3], v[25:26], off offset:8
.LBB1_102:                              ;   in Loop: Header=BB1_32 Depth=1
	s_or_b64 exec, exec, s[14:15]
	s_waitcnt vmcnt(0)
	global_load_dwordx2 v[6:7], v[2:3], off offset:16
	s_waitcnt vmcnt(0)
	v_cmp_eq_u64_e32 vcc, 0, v[6:7]
	s_cbranch_vccnz .LBB1_104
; %bb.103:                              ;   in Loop: Header=BB1_32 Depth=1
	global_load_dword v25, v[2:3], off offset:24
	s_waitcnt vmcnt(0)
	v_readfirstlane_b32 s14, v25
	s_and_b32 m0, s14, 0xffffff
	global_store_dwordx2 v[6:7], v[25:26], off
	s_sendmsg sendmsg(MSG_INTERRUPT)
.LBB1_104:                              ;   in Loop: Header=BB1_32 Depth=1
	s_or_b64 exec, exec, s[12:13]
	v_add_co_u32_e32 v2, vcc, v24, v29
	v_addc_co_u32_e32 v3, vcc, 0, v31, vcc
	s_branch .LBB1_108
.LBB1_105:                              ;   in Loop: Header=BB1_108 Depth=2
	s_or_b64 exec, exec, s[12:13]
	v_readfirstlane_b32 s12, v6
	s_cmp_eq_u32 s12, 0
	s_cbranch_scc1 .LBB1_107
; %bb.106:                              ;   in Loop: Header=BB1_108 Depth=2
	s_sleep 1
	s_cbranch_execnz .LBB1_108
	s_branch .LBB1_110
.LBB1_107:                              ;   in Loop: Header=BB1_32 Depth=1
	s_branch .LBB1_110
.LBB1_108:                              ;   Parent Loop BB1_32 Depth=1
                                        ; =>  This Inner Loop Header: Depth=2
	v_mov_b32_e32 v6, 1
	s_and_saveexec_b64 s[12:13], s[0:1]
	s_cbranch_execz .LBB1_105
; %bb.109:                              ;   in Loop: Header=BB1_108 Depth=2
	global_load_dword v6, v[27:28], off offset:20 glc
	s_waitcnt vmcnt(0)
	buffer_wbinvl1_vol
	v_and_b32_e32 v6, 1, v6
	s_branch .LBB1_105
.LBB1_110:                              ;   in Loop: Header=BB1_32 Depth=1
	global_load_dwordx4 v[6:9], v[2:3], off
	s_and_saveexec_b64 s[12:13], s[0:1]
	s_cbranch_execz .LBB1_31
; %bb.111:                              ;   in Loop: Header=BB1_32 Depth=1
	global_load_dwordx2 v[2:3], v26, s[2:3] offset:40
	global_load_dwordx2 v[12:13], v26, s[2:3] offset:24 glc
	global_load_dwordx2 v[8:9], v26, s[2:3]
	s_waitcnt vmcnt(2)
	v_readfirstlane_b32 s14, v2
	v_readfirstlane_b32 s15, v3
	s_add_u32 s16, s14, 1
	s_addc_u32 s17, s15, 0
	s_add_u32 s0, s16, s10
	s_addc_u32 s1, s17, s11
	s_cmp_eq_u64 s[0:1], 0
	s_cselect_b32 s1, s17, s1
	s_cselect_b32 s0, s16, s0
	s_and_b64 s[10:11], s[0:1], s[14:15]
	s_mul_i32 s11, s11, 24
	s_mul_hi_u32 s14, s10, 24
	s_mul_i32 s10, s10, 24
	s_add_i32 s11, s14, s11
	v_mov_b32_e32 v3, s11
	s_waitcnt vmcnt(0)
	v_add_co_u32_e32 v2, vcc, s10, v8
	v_addc_co_u32_e32 v3, vcc, v9, v3, vcc
	v_mov_b32_e32 v10, s0
	global_store_dwordx2 v[2:3], v[12:13], off
	v_mov_b32_e32 v11, s1
	s_waitcnt vmcnt(0)
	global_atomic_cmpswap_x2 v[10:11], v26, v[10:13], s[2:3] offset:24 glc
	s_waitcnt vmcnt(0)
	v_cmp_ne_u64_e32 vcc, v[10:11], v[12:13]
	s_and_b64 exec, exec, vcc
	s_cbranch_execz .LBB1_31
; %bb.112:                              ;   in Loop: Header=BB1_32 Depth=1
	s_mov_b64 s[10:11], 0
.LBB1_113:                              ;   Parent Loop BB1_32 Depth=1
                                        ; =>  This Inner Loop Header: Depth=2
	s_sleep 1
	global_store_dwordx2 v[2:3], v[10:11], off
	v_mov_b32_e32 v8, s0
	v_mov_b32_e32 v9, s1
	s_waitcnt vmcnt(0)
	global_atomic_cmpswap_x2 v[8:9], v26, v[8:11], s[2:3] offset:24 glc
	s_waitcnt vmcnt(0)
	v_cmp_eq_u64_e32 vcc, v[8:9], v[10:11]
	v_mov_b32_e32 v11, v9
	s_or_b64 s[10:11], vcc, s[10:11]
	v_mov_b32_e32 v10, v8
	s_andn2_b64 exec, exec, s[10:11]
	s_cbranch_execnz .LBB1_113
	s_branch .LBB1_31
.LBB1_114:
	s_branch .LBB1_141
.LBB1_115:
	s_cbranch_execz .LBB1_141
; %bb.116:
	v_readfirstlane_b32 s0, v30
	s_waitcnt vmcnt(0)
	v_mov_b32_e32 v8, 0
	v_mov_b32_e32 v9, 0
	v_cmp_eq_u32_e64 s[0:1], s0, v30
	s_and_saveexec_b64 s[4:5], s[0:1]
	s_cbranch_execz .LBB1_122
; %bb.117:
	v_mov_b32_e32 v2, 0
	global_load_dwordx2 v[5:6], v2, s[2:3] offset:24 glc
	s_waitcnt vmcnt(0)
	buffer_wbinvl1_vol
	global_load_dwordx2 v[3:4], v2, s[2:3] offset:40
	global_load_dwordx2 v[7:8], v2, s[2:3]
	s_waitcnt vmcnt(1)
	v_and_b32_e32 v3, v3, v5
	v_and_b32_e32 v4, v4, v6
	v_mul_lo_u32 v4, v4, 24
	v_mul_hi_u32 v9, v3, 24
	v_mul_lo_u32 v3, v3, 24
	v_add_u32_e32 v4, v9, v4
	s_waitcnt vmcnt(0)
	v_add_co_u32_e32 v3, vcc, v7, v3
	v_addc_co_u32_e32 v4, vcc, v8, v4, vcc
	global_load_dwordx2 v[3:4], v[3:4], off glc
	s_waitcnt vmcnt(0)
	global_atomic_cmpswap_x2 v[8:9], v2, v[3:6], s[2:3] offset:24 glc
	s_waitcnt vmcnt(0)
	buffer_wbinvl1_vol
	v_cmp_ne_u64_e32 vcc, v[8:9], v[5:6]
	s_and_saveexec_b64 s[6:7], vcc
	s_cbranch_execz .LBB1_121
; %bb.118:
	s_mov_b64 s[8:9], 0
.LBB1_119:                              ; =>This Inner Loop Header: Depth=1
	s_sleep 1
	global_load_dwordx2 v[3:4], v2, s[2:3] offset:40
	global_load_dwordx2 v[10:11], v2, s[2:3]
	v_mov_b32_e32 v5, v8
	v_mov_b32_e32 v6, v9
	s_waitcnt vmcnt(1)
	v_and_b32_e32 v3, v3, v5
	s_waitcnt vmcnt(0)
	v_mad_u64_u32 v[7:8], s[10:11], v3, 24, v[10:11]
	v_and_b32_e32 v4, v4, v6
	v_mov_b32_e32 v3, v8
	v_mad_u64_u32 v[3:4], s[10:11], v4, 24, v[3:4]
	v_mov_b32_e32 v8, v3
	global_load_dwordx2 v[3:4], v[7:8], off glc
	s_waitcnt vmcnt(0)
	global_atomic_cmpswap_x2 v[8:9], v2, v[3:6], s[2:3] offset:24 glc
	s_waitcnt vmcnt(0)
	buffer_wbinvl1_vol
	v_cmp_eq_u64_e32 vcc, v[8:9], v[5:6]
	s_or_b64 s[8:9], vcc, s[8:9]
	s_andn2_b64 exec, exec, s[8:9]
	s_cbranch_execnz .LBB1_119
; %bb.120:
	s_or_b64 exec, exec, s[8:9]
.LBB1_121:
	s_or_b64 exec, exec, s[6:7]
.LBB1_122:
	s_or_b64 exec, exec, s[4:5]
	v_mov_b32_e32 v2, 0
	global_load_dwordx2 v[10:11], v2, s[2:3] offset:40
	global_load_dwordx4 v[4:7], v2, s[2:3]
	v_readfirstlane_b32 s5, v9
	v_readfirstlane_b32 s4, v8
	s_mov_b64 s[6:7], exec
	s_waitcnt vmcnt(1)
	v_readfirstlane_b32 s8, v10
	v_readfirstlane_b32 s9, v11
	s_and_b64 s[8:9], s[8:9], s[4:5]
	s_mul_i32 s10, s9, 24
	s_mul_hi_u32 s11, s8, 24
	s_mul_i32 s12, s8, 24
	s_add_i32 s10, s11, s10
	v_mov_b32_e32 v3, s10
	s_waitcnt vmcnt(0)
	v_add_co_u32_e32 v8, vcc, s12, v4
	v_addc_co_u32_e32 v9, vcc, v5, v3, vcc
	s_and_saveexec_b64 s[10:11], s[0:1]
	s_cbranch_execz .LBB1_124
; %bb.123:
	v_mov_b32_e32 v11, s7
	v_mov_b32_e32 v10, s6
	;; [unrolled: 1-line block ×4, first 2 shown]
	global_store_dwordx4 v[8:9], v[10:13], off offset:8
.LBB1_124:
	s_or_b64 exec, exec, s[10:11]
	s_lshl_b64 s[6:7], s[8:9], 12
	v_mov_b32_e32 v3, s7
	v_add_co_u32_e32 v6, vcc, s6, v6
	v_addc_co_u32_e32 v7, vcc, v7, v3, vcc
	s_movk_i32 s6, 0xff1d
	v_and_or_b32 v0, v0, s6, 34
	s_mov_b32 s8, 0
	v_mov_b32_e32 v3, v2
	v_readfirstlane_b32 s6, v6
	v_readfirstlane_b32 s7, v7
	s_mov_b32 s9, s8
	s_mov_b32 s10, s8
	;; [unrolled: 1-line block ×3, first 2 shown]
	s_nop 1
	global_store_dwordx4 v29, v[0:3], s[6:7]
	s_nop 0
	v_mov_b32_e32 v0, s8
	v_mov_b32_e32 v1, s9
	;; [unrolled: 1-line block ×4, first 2 shown]
	global_store_dwordx4 v29, v[0:3], s[6:7] offset:16
	global_store_dwordx4 v29, v[0:3], s[6:7] offset:32
	;; [unrolled: 1-line block ×3, first 2 shown]
	s_and_saveexec_b64 s[6:7], s[0:1]
	s_cbranch_execz .LBB1_132
; %bb.125:
	v_mov_b32_e32 v6, 0
	global_load_dwordx2 v[12:13], v6, s[2:3] offset:32 glc
	global_load_dwordx2 v[0:1], v6, s[2:3] offset:40
	v_mov_b32_e32 v10, s4
	v_mov_b32_e32 v11, s5
	s_waitcnt vmcnt(0)
	v_readfirstlane_b32 s8, v0
	v_readfirstlane_b32 s9, v1
	s_and_b64 s[8:9], s[8:9], s[4:5]
	s_mul_i32 s9, s9, 24
	s_mul_hi_u32 s10, s8, 24
	s_mul_i32 s8, s8, 24
	s_add_i32 s9, s10, s9
	v_mov_b32_e32 v0, s9
	v_add_co_u32_e32 v4, vcc, s8, v4
	v_addc_co_u32_e32 v5, vcc, v5, v0, vcc
	global_store_dwordx2 v[4:5], v[12:13], off
	s_waitcnt vmcnt(0)
	global_atomic_cmpswap_x2 v[2:3], v6, v[10:13], s[2:3] offset:32 glc
	s_waitcnt vmcnt(0)
	v_cmp_ne_u64_e32 vcc, v[2:3], v[12:13]
	s_and_saveexec_b64 s[8:9], vcc
	s_cbranch_execz .LBB1_128
; %bb.126:
	s_mov_b64 s[10:11], 0
.LBB1_127:                              ; =>This Inner Loop Header: Depth=1
	s_sleep 1
	global_store_dwordx2 v[4:5], v[2:3], off
	v_mov_b32_e32 v0, s4
	v_mov_b32_e32 v1, s5
	s_waitcnt vmcnt(0)
	global_atomic_cmpswap_x2 v[0:1], v6, v[0:3], s[2:3] offset:32 glc
	s_waitcnt vmcnt(0)
	v_cmp_eq_u64_e32 vcc, v[0:1], v[2:3]
	v_mov_b32_e32 v3, v1
	s_or_b64 s[10:11], vcc, s[10:11]
	v_mov_b32_e32 v2, v0
	s_andn2_b64 exec, exec, s[10:11]
	s_cbranch_execnz .LBB1_127
.LBB1_128:
	s_or_b64 exec, exec, s[8:9]
	v_mov_b32_e32 v3, 0
	global_load_dwordx2 v[0:1], v3, s[2:3] offset:16
	s_mov_b64 s[8:9], exec
	v_mbcnt_lo_u32_b32 v2, s8, 0
	v_mbcnt_hi_u32_b32 v2, s9, v2
	v_cmp_eq_u32_e32 vcc, 0, v2
	s_and_saveexec_b64 s[10:11], vcc
	s_cbranch_execz .LBB1_130
; %bb.129:
	s_bcnt1_i32_b64 s8, s[8:9]
	v_mov_b32_e32 v2, s8
	s_waitcnt vmcnt(0)
	global_atomic_add_x2 v[0:1], v[2:3], off offset:8
.LBB1_130:
	s_or_b64 exec, exec, s[10:11]
	s_waitcnt vmcnt(0)
	global_load_dwordx2 v[2:3], v[0:1], off offset:16
	s_waitcnt vmcnt(0)
	v_cmp_eq_u64_e32 vcc, 0, v[2:3]
	s_cbranch_vccnz .LBB1_132
; %bb.131:
	global_load_dword v0, v[0:1], off offset:24
	v_mov_b32_e32 v1, 0
	s_waitcnt vmcnt(0)
	v_readfirstlane_b32 s8, v0
	s_and_b32 m0, s8, 0xffffff
	global_store_dwordx2 v[2:3], v[0:1], off
	s_sendmsg sendmsg(MSG_INTERRUPT)
.LBB1_132:
	s_or_b64 exec, exec, s[6:7]
	s_branch .LBB1_136
.LBB1_133:                              ;   in Loop: Header=BB1_136 Depth=1
	s_or_b64 exec, exec, s[6:7]
	v_readfirstlane_b32 s6, v0
	s_cmp_eq_u32 s6, 0
	s_cbranch_scc1 .LBB1_135
; %bb.134:                              ;   in Loop: Header=BB1_136 Depth=1
	s_sleep 1
	s_cbranch_execnz .LBB1_136
	s_branch .LBB1_138
.LBB1_135:
	s_branch .LBB1_138
.LBB1_136:                              ; =>This Inner Loop Header: Depth=1
	v_mov_b32_e32 v0, 1
	s_and_saveexec_b64 s[6:7], s[0:1]
	s_cbranch_execz .LBB1_133
; %bb.137:                              ;   in Loop: Header=BB1_136 Depth=1
	global_load_dword v0, v[8:9], off offset:20 glc
	s_waitcnt vmcnt(0)
	buffer_wbinvl1_vol
	v_and_b32_e32 v0, 1, v0
	s_branch .LBB1_133
.LBB1_138:
	s_and_saveexec_b64 s[6:7], s[0:1]
	s_cbranch_execz .LBB1_141
; %bb.139:
	v_mov_b32_e32 v6, 0
	global_load_dwordx2 v[0:1], v6, s[2:3] offset:40
	global_load_dwordx2 v[9:10], v6, s[2:3] offset:24 glc
	global_load_dwordx2 v[2:3], v6, s[2:3]
	s_waitcnt vmcnt(2)
	v_readfirstlane_b32 s6, v0
	v_readfirstlane_b32 s7, v1
	s_add_u32 s8, s6, 1
	s_addc_u32 s9, s7, 0
	s_add_u32 s0, s8, s4
	s_addc_u32 s1, s9, s5
	s_cmp_eq_u64 s[0:1], 0
	s_cselect_b32 s1, s9, s1
	s_cselect_b32 s0, s8, s0
	s_and_b64 s[4:5], s[0:1], s[6:7]
	s_mul_i32 s5, s5, 24
	s_mul_hi_u32 s6, s4, 24
	s_mul_i32 s4, s4, 24
	s_add_i32 s5, s6, s5
	v_mov_b32_e32 v0, s5
	s_waitcnt vmcnt(0)
	v_add_co_u32_e32 v4, vcc, s4, v2
	v_addc_co_u32_e32 v5, vcc, v3, v0, vcc
	v_mov_b32_e32 v7, s0
	global_store_dwordx2 v[4:5], v[9:10], off
	v_mov_b32_e32 v8, s1
	s_waitcnt vmcnt(0)
	global_atomic_cmpswap_x2 v[2:3], v6, v[7:10], s[2:3] offset:24 glc
	s_mov_b64 s[4:5], 0
	s_waitcnt vmcnt(0)
	v_cmp_ne_u64_e32 vcc, v[2:3], v[9:10]
	s_and_b64 exec, exec, vcc
	s_cbranch_execz .LBB1_141
.LBB1_140:                              ; =>This Inner Loop Header: Depth=1
	s_sleep 1
	global_store_dwordx2 v[4:5], v[2:3], off
	v_mov_b32_e32 v0, s0
	v_mov_b32_e32 v1, s1
	s_waitcnt vmcnt(0)
	global_atomic_cmpswap_x2 v[0:1], v6, v[0:3], s[2:3] offset:24 glc
	s_waitcnt vmcnt(0)
	v_cmp_eq_u64_e32 vcc, v[0:1], v[2:3]
	v_mov_b32_e32 v3, v1
	s_or_b64 s[4:5], vcc, s[4:5]
	v_mov_b32_e32 v2, v0
	s_andn2_b64 exec, exec, s[4:5]
	s_cbranch_execnz .LBB1_140
.LBB1_141:
	s_endpgm
	.section	.rodata,"a",@progbits
	.p2align	6, 0x0
	.amdhsa_kernel _ZN2at6native30tinygemm_m16n8k16_chunk_kernelINS0_10ALayout_RMILNS0_14KReductionTypeE0EEENS0_15BLayout_TC_int4ILi4ELi32EEES4_Li8ELi8EEEvPKvS8_S8_Pviiiiii
		.amdhsa_group_segment_fixed_size 0
		.amdhsa_private_segment_fixed_size 0
		.amdhsa_kernarg_size 312
		.amdhsa_user_sgpr_count 6
		.amdhsa_user_sgpr_private_segment_buffer 1
		.amdhsa_user_sgpr_dispatch_ptr 0
		.amdhsa_user_sgpr_queue_ptr 0
		.amdhsa_user_sgpr_kernarg_segment_ptr 1
		.amdhsa_user_sgpr_dispatch_id 0
		.amdhsa_user_sgpr_flat_scratch_init 0
		.amdhsa_user_sgpr_private_segment_size 0
		.amdhsa_uses_dynamic_stack 0
		.amdhsa_system_sgpr_private_segment_wavefront_offset 0
		.amdhsa_system_sgpr_workgroup_id_x 1
		.amdhsa_system_sgpr_workgroup_id_y 0
		.amdhsa_system_sgpr_workgroup_id_z 0
		.amdhsa_system_sgpr_workgroup_info 0
		.amdhsa_system_vgpr_workitem_id 0
		.amdhsa_next_free_vgpr 32
		.amdhsa_next_free_sgpr 19
		.amdhsa_reserve_vcc 1
		.amdhsa_reserve_flat_scratch 0
		.amdhsa_float_round_mode_32 0
		.amdhsa_float_round_mode_16_64 0
		.amdhsa_float_denorm_mode_32 3
		.amdhsa_float_denorm_mode_16_64 3
		.amdhsa_dx10_clamp 1
		.amdhsa_ieee_mode 1
		.amdhsa_fp16_overflow 0
		.amdhsa_exception_fp_ieee_invalid_op 0
		.amdhsa_exception_fp_denorm_src 0
		.amdhsa_exception_fp_ieee_div_zero 0
		.amdhsa_exception_fp_ieee_overflow 0
		.amdhsa_exception_fp_ieee_underflow 0
		.amdhsa_exception_fp_ieee_inexact 0
		.amdhsa_exception_int_div_zero 0
	.end_amdhsa_kernel
	.section	.text._ZN2at6native30tinygemm_m16n8k16_chunk_kernelINS0_10ALayout_RMILNS0_14KReductionTypeE0EEENS0_15BLayout_TC_int4ILi4ELi32EEES4_Li8ELi8EEEvPKvS8_S8_Pviiiiii,"axG",@progbits,_ZN2at6native30tinygemm_m16n8k16_chunk_kernelINS0_10ALayout_RMILNS0_14KReductionTypeE0EEENS0_15BLayout_TC_int4ILi4ELi32EEES4_Li8ELi8EEEvPKvS8_S8_Pviiiiii,comdat
.Lfunc_end1:
	.size	_ZN2at6native30tinygemm_m16n8k16_chunk_kernelINS0_10ALayout_RMILNS0_14KReductionTypeE0EEENS0_15BLayout_TC_int4ILi4ELi32EEES4_Li8ELi8EEEvPKvS8_S8_Pviiiiii, .Lfunc_end1-_ZN2at6native30tinygemm_m16n8k16_chunk_kernelINS0_10ALayout_RMILNS0_14KReductionTypeE0EEENS0_15BLayout_TC_int4ILi4ELi32EEES4_Li8ELi8EEEvPKvS8_S8_Pviiiiii
                                        ; -- End function
	.set _ZN2at6native30tinygemm_m16n8k16_chunk_kernelINS0_10ALayout_RMILNS0_14KReductionTypeE0EEENS0_15BLayout_TC_int4ILi4ELi32EEES4_Li8ELi8EEEvPKvS8_S8_Pviiiiii.num_vgpr, 32
	.set _ZN2at6native30tinygemm_m16n8k16_chunk_kernelINS0_10ALayout_RMILNS0_14KReductionTypeE0EEENS0_15BLayout_TC_int4ILi4ELi32EEES4_Li8ELi8EEEvPKvS8_S8_Pviiiiii.num_agpr, 0
	.set _ZN2at6native30tinygemm_m16n8k16_chunk_kernelINS0_10ALayout_RMILNS0_14KReductionTypeE0EEENS0_15BLayout_TC_int4ILi4ELi32EEES4_Li8ELi8EEEvPKvS8_S8_Pviiiiii.numbered_sgpr, 19
	.set _ZN2at6native30tinygemm_m16n8k16_chunk_kernelINS0_10ALayout_RMILNS0_14KReductionTypeE0EEENS0_15BLayout_TC_int4ILi4ELi32EEES4_Li8ELi8EEEvPKvS8_S8_Pviiiiii.num_named_barrier, 0
	.set _ZN2at6native30tinygemm_m16n8k16_chunk_kernelINS0_10ALayout_RMILNS0_14KReductionTypeE0EEENS0_15BLayout_TC_int4ILi4ELi32EEES4_Li8ELi8EEEvPKvS8_S8_Pviiiiii.private_seg_size, 0
	.set _ZN2at6native30tinygemm_m16n8k16_chunk_kernelINS0_10ALayout_RMILNS0_14KReductionTypeE0EEENS0_15BLayout_TC_int4ILi4ELi32EEES4_Li8ELi8EEEvPKvS8_S8_Pviiiiii.uses_vcc, 1
	.set _ZN2at6native30tinygemm_m16n8k16_chunk_kernelINS0_10ALayout_RMILNS0_14KReductionTypeE0EEENS0_15BLayout_TC_int4ILi4ELi32EEES4_Li8ELi8EEEvPKvS8_S8_Pviiiiii.uses_flat_scratch, 0
	.set _ZN2at6native30tinygemm_m16n8k16_chunk_kernelINS0_10ALayout_RMILNS0_14KReductionTypeE0EEENS0_15BLayout_TC_int4ILi4ELi32EEES4_Li8ELi8EEEvPKvS8_S8_Pviiiiii.has_dyn_sized_stack, 0
	.set _ZN2at6native30tinygemm_m16n8k16_chunk_kernelINS0_10ALayout_RMILNS0_14KReductionTypeE0EEENS0_15BLayout_TC_int4ILi4ELi32EEES4_Li8ELi8EEEvPKvS8_S8_Pviiiiii.has_recursion, 0
	.set _ZN2at6native30tinygemm_m16n8k16_chunk_kernelINS0_10ALayout_RMILNS0_14KReductionTypeE0EEENS0_15BLayout_TC_int4ILi4ELi32EEES4_Li8ELi8EEEvPKvS8_S8_Pviiiiii.has_indirect_call, 0
	.section	.AMDGPU.csdata,"",@progbits
; Kernel info:
; codeLenInByte = 4752
; TotalNumSgprs: 23
; NumVgprs: 32
; ScratchSize: 0
; MemoryBound: 0
; FloatMode: 240
; IeeeMode: 1
; LDSByteSize: 0 bytes/workgroup (compile time only)
; SGPRBlocks: 2
; VGPRBlocks: 7
; NumSGPRsForWavesPerEU: 23
; NumVGPRsForWavesPerEU: 32
; Occupancy: 8
; WaveLimiterHint : 1
; COMPUTE_PGM_RSRC2:SCRATCH_EN: 0
; COMPUTE_PGM_RSRC2:USER_SGPR: 6
; COMPUTE_PGM_RSRC2:TRAP_HANDLER: 0
; COMPUTE_PGM_RSRC2:TGID_X_EN: 1
; COMPUTE_PGM_RSRC2:TGID_Y_EN: 0
; COMPUTE_PGM_RSRC2:TGID_Z_EN: 0
; COMPUTE_PGM_RSRC2:TIDIG_COMP_CNT: 0
	.section	.text._ZN2at6native30tinygemm_m16n8k16_chunk_kernelINS0_10ALayout_RMILNS0_14KReductionTypeE0EEENS0_15BLayout_TC_int4ILi8ELi32EEES4_Li8ELi8EEEvPKvS8_S8_Pviiiiii,"axG",@progbits,_ZN2at6native30tinygemm_m16n8k16_chunk_kernelINS0_10ALayout_RMILNS0_14KReductionTypeE0EEENS0_15BLayout_TC_int4ILi8ELi32EEES4_Li8ELi8EEEvPKvS8_S8_Pviiiiii,comdat
	.protected	_ZN2at6native30tinygemm_m16n8k16_chunk_kernelINS0_10ALayout_RMILNS0_14KReductionTypeE0EEENS0_15BLayout_TC_int4ILi8ELi32EEES4_Li8ELi8EEEvPKvS8_S8_Pviiiiii ; -- Begin function _ZN2at6native30tinygemm_m16n8k16_chunk_kernelINS0_10ALayout_RMILNS0_14KReductionTypeE0EEENS0_15BLayout_TC_int4ILi8ELi32EEES4_Li8ELi8EEEvPKvS8_S8_Pviiiiii
	.globl	_ZN2at6native30tinygemm_m16n8k16_chunk_kernelINS0_10ALayout_RMILNS0_14KReductionTypeE0EEENS0_15BLayout_TC_int4ILi8ELi32EEES4_Li8ELi8EEEvPKvS8_S8_Pviiiiii
	.p2align	8
	.type	_ZN2at6native30tinygemm_m16n8k16_chunk_kernelINS0_10ALayout_RMILNS0_14KReductionTypeE0EEENS0_15BLayout_TC_int4ILi8ELi32EEES4_Li8ELi8EEEvPKvS8_S8_Pviiiiii,@function
_ZN2at6native30tinygemm_m16n8k16_chunk_kernelINS0_10ALayout_RMILNS0_14KReductionTypeE0EEENS0_15BLayout_TC_int4ILi8ELi32EEES4_Li8ELi8EEEvPKvS8_S8_Pviiiiii: ; @_ZN2at6native30tinygemm_m16n8k16_chunk_kernelINS0_10ALayout_RMILNS0_14KReductionTypeE0EEENS0_15BLayout_TC_int4ILi8ELi32EEES4_Li8ELi8EEEvPKvS8_S8_Pviiiiii
; %bb.0:
	s_load_dwordx2 s[2:3], s[4:5], 0x88
	v_mbcnt_lo_u32_b32 v0, -1, 0
	v_mbcnt_hi_u32_b32 v30, -1, v0
	v_readfirstlane_b32 s0, v30
	v_mov_b32_e32 v5, 0
	v_mov_b32_e32 v6, 0
	v_cmp_eq_u32_e64 s[0:1], s0, v30
	s_and_saveexec_b64 s[4:5], s[0:1]
	s_cbranch_execz .LBB2_6
; %bb.1:
	v_mov_b32_e32 v0, 0
	s_waitcnt lgkmcnt(0)
	global_load_dwordx2 v[3:4], v0, s[2:3] offset:24 glc
	s_waitcnt vmcnt(0)
	buffer_wbinvl1_vol
	global_load_dwordx2 v[1:2], v0, s[2:3] offset:40
	global_load_dwordx2 v[5:6], v0, s[2:3]
	s_waitcnt vmcnt(1)
	v_and_b32_e32 v1, v1, v3
	v_and_b32_e32 v2, v2, v4
	v_mul_lo_u32 v2, v2, 24
	v_mul_hi_u32 v7, v1, 24
	v_mul_lo_u32 v1, v1, 24
	v_add_u32_e32 v2, v7, v2
	s_waitcnt vmcnt(0)
	v_add_co_u32_e32 v1, vcc, v5, v1
	v_addc_co_u32_e32 v2, vcc, v6, v2, vcc
	global_load_dwordx2 v[1:2], v[1:2], off glc
	s_waitcnt vmcnt(0)
	global_atomic_cmpswap_x2 v[5:6], v0, v[1:4], s[2:3] offset:24 glc
	s_waitcnt vmcnt(0)
	buffer_wbinvl1_vol
	v_cmp_ne_u64_e32 vcc, v[5:6], v[3:4]
	s_and_saveexec_b64 s[6:7], vcc
	s_cbranch_execz .LBB2_5
; %bb.2:
	s_mov_b64 s[8:9], 0
.LBB2_3:                                ; =>This Inner Loop Header: Depth=1
	s_sleep 1
	global_load_dwordx2 v[1:2], v0, s[2:3] offset:40
	global_load_dwordx2 v[7:8], v0, s[2:3]
	v_mov_b32_e32 v3, v5
	v_mov_b32_e32 v4, v6
	s_waitcnt vmcnt(1)
	v_and_b32_e32 v1, v1, v3
	s_waitcnt vmcnt(0)
	v_mad_u64_u32 v[5:6], s[10:11], v1, 24, v[7:8]
	v_and_b32_e32 v2, v2, v4
	v_mov_b32_e32 v1, v6
	v_mad_u64_u32 v[1:2], s[10:11], v2, 24, v[1:2]
	v_mov_b32_e32 v6, v1
	global_load_dwordx2 v[1:2], v[5:6], off glc
	s_waitcnt vmcnt(0)
	global_atomic_cmpswap_x2 v[5:6], v0, v[1:4], s[2:3] offset:24 glc
	s_waitcnt vmcnt(0)
	buffer_wbinvl1_vol
	v_cmp_eq_u64_e32 vcc, v[5:6], v[3:4]
	s_or_b64 s[8:9], vcc, s[8:9]
	s_andn2_b64 exec, exec, s[8:9]
	s_cbranch_execnz .LBB2_3
; %bb.4:
	s_or_b64 exec, exec, s[8:9]
.LBB2_5:
	s_or_b64 exec, exec, s[6:7]
.LBB2_6:
	s_or_b64 exec, exec, s[4:5]
	v_mov_b32_e32 v4, 0
	s_waitcnt lgkmcnt(0)
	global_load_dwordx2 v[7:8], v4, s[2:3] offset:40
	global_load_dwordx4 v[0:3], v4, s[2:3]
	v_readfirstlane_b32 s5, v6
	v_readfirstlane_b32 s4, v5
	s_mov_b64 s[6:7], exec
	s_waitcnt vmcnt(1)
	v_readfirstlane_b32 s8, v7
	v_readfirstlane_b32 s9, v8
	s_and_b64 s[8:9], s[8:9], s[4:5]
	s_mul_i32 s10, s9, 24
	s_mul_hi_u32 s11, s8, 24
	s_mul_i32 s12, s8, 24
	s_add_i32 s10, s11, s10
	v_mov_b32_e32 v5, s10
	s_waitcnt vmcnt(0)
	v_add_co_u32_e32 v7, vcc, s12, v0
	v_addc_co_u32_e32 v8, vcc, v1, v5, vcc
	s_and_saveexec_b64 s[10:11], s[0:1]
	s_cbranch_execz .LBB2_8
; %bb.7:
	v_mov_b32_e32 v10, s7
	v_mov_b32_e32 v9, s6
	;; [unrolled: 1-line block ×4, first 2 shown]
	global_store_dwordx4 v[7:8], v[9:12], off offset:8
.LBB2_8:
	s_or_b64 exec, exec, s[10:11]
	s_lshl_b64 s[6:7], s[8:9], 12
	v_mov_b32_e32 v5, s7
	v_add_co_u32_e32 v2, vcc, s6, v2
	v_addc_co_u32_e32 v11, vcc, v3, v5, vcc
	v_lshlrev_b32_e32 v29, 6, v30
	s_mov_b32 s8, 0
	v_mov_b32_e32 v3, 33
	v_mov_b32_e32 v5, v4
	;; [unrolled: 1-line block ×3, first 2 shown]
	v_readfirstlane_b32 s6, v2
	v_readfirstlane_b32 s7, v11
	v_add_co_u32_e32 v9, vcc, v2, v29
	s_mov_b32 s9, s8
	s_mov_b32 s10, s8
	;; [unrolled: 1-line block ×3, first 2 shown]
	s_nop 0
	global_store_dwordx4 v29, v[3:6], s[6:7]
	v_mov_b32_e32 v2, s8
	v_addc_co_u32_e32 v10, vcc, 0, v11, vcc
	v_mov_b32_e32 v3, s9
	v_mov_b32_e32 v4, s10
	;; [unrolled: 1-line block ×3, first 2 shown]
	global_store_dwordx4 v29, v[2:5], s[6:7] offset:16
	global_store_dwordx4 v29, v[2:5], s[6:7] offset:32
	;; [unrolled: 1-line block ×3, first 2 shown]
	s_and_saveexec_b64 s[6:7], s[0:1]
	s_cbranch_execz .LBB2_16
; %bb.9:
	v_mov_b32_e32 v6, 0
	global_load_dwordx2 v[13:14], v6, s[2:3] offset:32 glc
	global_load_dwordx2 v[2:3], v6, s[2:3] offset:40
	v_mov_b32_e32 v11, s4
	v_mov_b32_e32 v12, s5
	s_waitcnt vmcnt(0)
	v_and_b32_e32 v2, s4, v2
	v_and_b32_e32 v3, s5, v3
	v_mul_lo_u32 v3, v3, 24
	v_mul_hi_u32 v4, v2, 24
	v_mul_lo_u32 v2, v2, 24
	v_add_u32_e32 v3, v4, v3
	v_add_co_u32_e32 v4, vcc, v0, v2
	v_addc_co_u32_e32 v5, vcc, v1, v3, vcc
	global_store_dwordx2 v[4:5], v[13:14], off
	s_waitcnt vmcnt(0)
	global_atomic_cmpswap_x2 v[2:3], v6, v[11:14], s[2:3] offset:32 glc
	s_waitcnt vmcnt(0)
	v_cmp_ne_u64_e32 vcc, v[2:3], v[13:14]
	s_and_saveexec_b64 s[8:9], vcc
	s_cbranch_execz .LBB2_12
; %bb.10:
	s_mov_b64 s[10:11], 0
.LBB2_11:                               ; =>This Inner Loop Header: Depth=1
	s_sleep 1
	global_store_dwordx2 v[4:5], v[2:3], off
	v_mov_b32_e32 v0, s4
	v_mov_b32_e32 v1, s5
	s_waitcnt vmcnt(0)
	global_atomic_cmpswap_x2 v[0:1], v6, v[0:3], s[2:3] offset:32 glc
	s_waitcnt vmcnt(0)
	v_cmp_eq_u64_e32 vcc, v[0:1], v[2:3]
	v_mov_b32_e32 v3, v1
	s_or_b64 s[10:11], vcc, s[10:11]
	v_mov_b32_e32 v2, v0
	s_andn2_b64 exec, exec, s[10:11]
	s_cbranch_execnz .LBB2_11
.LBB2_12:
	s_or_b64 exec, exec, s[8:9]
	v_mov_b32_e32 v3, 0
	global_load_dwordx2 v[0:1], v3, s[2:3] offset:16
	s_mov_b64 s[8:9], exec
	v_mbcnt_lo_u32_b32 v2, s8, 0
	v_mbcnt_hi_u32_b32 v2, s9, v2
	v_cmp_eq_u32_e32 vcc, 0, v2
	s_and_saveexec_b64 s[10:11], vcc
	s_cbranch_execz .LBB2_14
; %bb.13:
	s_bcnt1_i32_b64 s8, s[8:9]
	v_mov_b32_e32 v2, s8
	s_waitcnt vmcnt(0)
	global_atomic_add_x2 v[0:1], v[2:3], off offset:8
.LBB2_14:
	s_or_b64 exec, exec, s[10:11]
	s_waitcnt vmcnt(0)
	global_load_dwordx2 v[2:3], v[0:1], off offset:16
	s_waitcnt vmcnt(0)
	v_cmp_eq_u64_e32 vcc, 0, v[2:3]
	s_cbranch_vccnz .LBB2_16
; %bb.15:
	global_load_dword v0, v[0:1], off offset:24
	v_mov_b32_e32 v1, 0
	s_waitcnt vmcnt(0)
	v_readfirstlane_b32 s8, v0
	s_and_b32 m0, s8, 0xffffff
	global_store_dwordx2 v[2:3], v[0:1], off
	s_sendmsg sendmsg(MSG_INTERRUPT)
.LBB2_16:
	s_or_b64 exec, exec, s[6:7]
	s_branch .LBB2_20
.LBB2_17:                               ;   in Loop: Header=BB2_20 Depth=1
	s_or_b64 exec, exec, s[6:7]
	v_readfirstlane_b32 s6, v0
	s_cmp_eq_u32 s6, 0
	s_cbranch_scc1 .LBB2_19
; %bb.18:                               ;   in Loop: Header=BB2_20 Depth=1
	s_sleep 1
	s_cbranch_execnz .LBB2_20
	s_branch .LBB2_22
.LBB2_19:
	s_branch .LBB2_22
.LBB2_20:                               ; =>This Inner Loop Header: Depth=1
	v_mov_b32_e32 v0, 1
	s_and_saveexec_b64 s[6:7], s[0:1]
	s_cbranch_execz .LBB2_17
; %bb.21:                               ;   in Loop: Header=BB2_20 Depth=1
	global_load_dword v0, v[7:8], off offset:20 glc
	s_waitcnt vmcnt(0)
	buffer_wbinvl1_vol
	v_and_b32_e32 v0, 1, v0
	s_branch .LBB2_17
.LBB2_22:
	global_load_dwordx2 v[0:1], v[9:10], off
	s_and_saveexec_b64 s[6:7], s[0:1]
	s_cbranch_execz .LBB2_25
; %bb.23:
	v_mov_b32_e32 v8, 0
	global_load_dwordx2 v[2:3], v8, s[2:3] offset:40
	global_load_dwordx2 v[11:12], v8, s[2:3] offset:24 glc
	global_load_dwordx2 v[4:5], v8, s[2:3]
	s_waitcnt vmcnt(2)
	v_readfirstlane_b32 s8, v2
	v_readfirstlane_b32 s9, v3
	s_add_u32 s10, s8, 1
	s_addc_u32 s11, s9, 0
	s_add_u32 s0, s10, s4
	s_addc_u32 s1, s11, s5
	s_cmp_eq_u64 s[0:1], 0
	s_cselect_b32 s1, s11, s1
	s_cselect_b32 s0, s10, s0
	s_and_b64 s[4:5], s[0:1], s[8:9]
	s_mul_i32 s5, s5, 24
	s_mul_hi_u32 s8, s4, 24
	s_mul_i32 s4, s4, 24
	s_add_i32 s5, s8, s5
	v_mov_b32_e32 v2, s5
	s_waitcnt vmcnt(0)
	v_add_co_u32_e32 v6, vcc, s4, v4
	v_addc_co_u32_e32 v7, vcc, v5, v2, vcc
	v_mov_b32_e32 v9, s0
	global_store_dwordx2 v[6:7], v[11:12], off
	v_mov_b32_e32 v10, s1
	s_waitcnt vmcnt(0)
	global_atomic_cmpswap_x2 v[4:5], v8, v[9:12], s[2:3] offset:24 glc
	s_mov_b64 s[4:5], 0
	s_waitcnt vmcnt(0)
	v_cmp_ne_u64_e32 vcc, v[4:5], v[11:12]
	s_and_b64 exec, exec, vcc
	s_cbranch_execz .LBB2_25
.LBB2_24:                               ; =>This Inner Loop Header: Depth=1
	s_sleep 1
	global_store_dwordx2 v[6:7], v[4:5], off
	v_mov_b32_e32 v2, s0
	v_mov_b32_e32 v3, s1
	s_waitcnt vmcnt(0)
	global_atomic_cmpswap_x2 v[2:3], v8, v[2:5], s[2:3] offset:24 glc
	s_waitcnt vmcnt(0)
	v_cmp_eq_u64_e32 vcc, v[2:3], v[4:5]
	v_mov_b32_e32 v5, v3
	s_or_b64 s[4:5], vcc, s[4:5]
	v_mov_b32_e32 v4, v2
	s_andn2_b64 exec, exec, s[4:5]
	s_cbranch_execnz .LBB2_24
.LBB2_25:
	s_or_b64 exec, exec, s[6:7]
	s_getpc_b64 s[4:5]
	s_add_u32 s4, s4, .str@rel32@lo+4
	s_addc_u32 s5, s5, .str@rel32@hi+12
	s_cmp_lg_u64 s[4:5], 0
	s_cselect_b64 s[0:1], -1, 0
	s_cmp_eq_u64 s[4:5], 0
	s_mov_b64 s[4:5], 0
	s_cbranch_scc1 .LBB2_29
; %bb.26:
	v_mov_b32_e32 v2, 0
	s_getpc_b64 s[4:5]
	s_add_u32 s4, s4, .str@rel32@lo+3
	s_addc_u32 s5, s5, .str@rel32@hi+11
.LBB2_27:                               ; =>This Inner Loop Header: Depth=1
	global_load_ubyte v3, v2, s[4:5] offset:1
	s_add_u32 s6, s4, 1
	s_addc_u32 s7, s5, 0
	s_mov_b64 s[4:5], s[6:7]
	s_waitcnt vmcnt(0)
	v_cmp_ne_u32_e32 vcc, 0, v3
	s_cbranch_vccnz .LBB2_27
; %bb.28:
	s_getpc_b64 s[4:5]
	s_add_u32 s4, s4, .str@rel32@lo+4
	s_addc_u32 s5, s5, .str@rel32@hi+12
	s_sub_u32 s4, s6, s4
	s_subb_u32 s5, s7, s5
	s_add_u32 s4, s4, 1
	s_addc_u32 s5, s5, 0
.LBB2_29:
	s_and_b64 vcc, exec, s[0:1]
	s_cbranch_vccz .LBB2_115
; %bb.30:
	s_waitcnt vmcnt(0)
	v_and_b32_e32 v6, -3, v0
	v_mov_b32_e32 v7, v1
	v_mov_b32_e32 v26, 0
	;; [unrolled: 1-line block ×4, first 2 shown]
	s_getpc_b64 s[6:7]
	s_add_u32 s6, s6, .str@rel32@lo+4
	s_addc_u32 s7, s7, .str@rel32@hi+12
	s_branch .LBB2_32
.LBB2_31:                               ;   in Loop: Header=BB2_32 Depth=1
	s_or_b64 exec, exec, s[12:13]
	s_sub_u32 s4, s4, s8
	s_subb_u32 s5, s5, s9
	s_add_u32 s6, s6, s8
	s_addc_u32 s7, s7, s9
	s_cmp_lg_u64 s[4:5], 0
	s_cbranch_scc0 .LBB2_114
.LBB2_32:                               ; =>This Loop Header: Depth=1
                                        ;     Child Loop BB2_35 Depth 2
                                        ;     Child Loop BB2_43 Depth 2
	;; [unrolled: 1-line block ×11, first 2 shown]
	v_cmp_lt_u64_e64 s[0:1], s[4:5], 56
	v_cmp_gt_u64_e64 s[10:11], s[4:5], 7
	s_and_b64 s[0:1], s[0:1], exec
	s_cselect_b32 s9, s5, 0
	s_cselect_b32 s8, s4, 56
	s_add_u32 s0, s6, 8
	s_addc_u32 s1, s7, 0
	s_and_b64 vcc, exec, s[10:11]
	s_cbranch_vccnz .LBB2_36
; %bb.33:                               ;   in Loop: Header=BB2_32 Depth=1
	s_cmp_eq_u64 s[4:5], 0
	s_cbranch_scc1 .LBB2_37
; %bb.34:                               ;   in Loop: Header=BB2_32 Depth=1
	s_waitcnt vmcnt(0)
	v_mov_b32_e32 v8, 0
	s_lshl_b64 s[0:1], s[8:9], 3
	s_mov_b64 s[10:11], 0
	v_mov_b32_e32 v9, 0
	s_mov_b64 s[12:13], s[6:7]
.LBB2_35:                               ;   Parent Loop BB2_32 Depth=1
                                        ; =>  This Inner Loop Header: Depth=2
	global_load_ubyte v2, v26, s[12:13]
	s_waitcnt vmcnt(0)
	v_and_b32_e32 v25, 0xffff, v2
	v_lshlrev_b64 v[2:3], s10, v[25:26]
	s_add_u32 s10, s10, 8
	s_addc_u32 s11, s11, 0
	s_add_u32 s12, s12, 1
	s_addc_u32 s13, s13, 0
	v_or_b32_e32 v8, v2, v8
	s_cmp_lg_u32 s0, s10
	v_or_b32_e32 v9, v3, v9
	s_cbranch_scc1 .LBB2_35
	s_branch .LBB2_38
.LBB2_36:                               ;   in Loop: Header=BB2_32 Depth=1
	s_mov_b32 s14, 0
	s_branch .LBB2_39
.LBB2_37:                               ;   in Loop: Header=BB2_32 Depth=1
	s_waitcnt vmcnt(0)
	v_mov_b32_e32 v8, 0
	v_mov_b32_e32 v9, 0
.LBB2_38:                               ;   in Loop: Header=BB2_32 Depth=1
	s_mov_b64 s[0:1], s[6:7]
	s_mov_b32 s14, 0
	s_cbranch_execnz .LBB2_40
.LBB2_39:                               ;   in Loop: Header=BB2_32 Depth=1
	global_load_dwordx2 v[8:9], v26, s[6:7]
	s_add_i32 s14, s8, -8
.LBB2_40:                               ;   in Loop: Header=BB2_32 Depth=1
	s_add_u32 s10, s0, 8
	s_addc_u32 s11, s1, 0
	s_cmp_gt_u32 s14, 7
	s_cbranch_scc1 .LBB2_44
; %bb.41:                               ;   in Loop: Header=BB2_32 Depth=1
	s_cmp_eq_u32 s14, 0
	s_cbranch_scc1 .LBB2_45
; %bb.42:                               ;   in Loop: Header=BB2_32 Depth=1
	v_mov_b32_e32 v10, 0
	s_mov_b64 s[10:11], 0
	v_mov_b32_e32 v11, 0
	s_mov_b64 s[12:13], 0
.LBB2_43:                               ;   Parent Loop BB2_32 Depth=1
                                        ; =>  This Inner Loop Header: Depth=2
	s_add_u32 s16, s0, s12
	s_addc_u32 s17, s1, s13
	global_load_ubyte v2, v26, s[16:17]
	s_add_u32 s12, s12, 1
	s_addc_u32 s13, s13, 0
	s_waitcnt vmcnt(0)
	v_and_b32_e32 v25, 0xffff, v2
	v_lshlrev_b64 v[2:3], s10, v[25:26]
	s_add_u32 s10, s10, 8
	s_addc_u32 s11, s11, 0
	v_or_b32_e32 v10, v2, v10
	s_cmp_lg_u32 s14, s12
	v_or_b32_e32 v11, v3, v11
	s_cbranch_scc1 .LBB2_43
	s_branch .LBB2_46
.LBB2_44:                               ;   in Loop: Header=BB2_32 Depth=1
                                        ; implicit-def: $vgpr10_vgpr11
	s_mov_b32 s15, 0
	s_branch .LBB2_47
.LBB2_45:                               ;   in Loop: Header=BB2_32 Depth=1
	v_mov_b32_e32 v10, 0
	v_mov_b32_e32 v11, 0
.LBB2_46:                               ;   in Loop: Header=BB2_32 Depth=1
	s_mov_b64 s[10:11], s[0:1]
	s_mov_b32 s15, 0
	s_cbranch_execnz .LBB2_48
.LBB2_47:                               ;   in Loop: Header=BB2_32 Depth=1
	global_load_dwordx2 v[10:11], v26, s[0:1]
	s_add_i32 s15, s14, -8
.LBB2_48:                               ;   in Loop: Header=BB2_32 Depth=1
	s_add_u32 s0, s10, 8
	s_addc_u32 s1, s11, 0
	s_cmp_gt_u32 s15, 7
	s_cbranch_scc1 .LBB2_52
; %bb.49:                               ;   in Loop: Header=BB2_32 Depth=1
	s_cmp_eq_u32 s15, 0
	s_cbranch_scc1 .LBB2_53
; %bb.50:                               ;   in Loop: Header=BB2_32 Depth=1
	v_mov_b32_e32 v12, 0
	s_mov_b64 s[0:1], 0
	v_mov_b32_e32 v13, 0
	s_mov_b64 s[12:13], 0
.LBB2_51:                               ;   Parent Loop BB2_32 Depth=1
                                        ; =>  This Inner Loop Header: Depth=2
	s_add_u32 s16, s10, s12
	s_addc_u32 s17, s11, s13
	global_load_ubyte v2, v26, s[16:17]
	s_add_u32 s12, s12, 1
	s_addc_u32 s13, s13, 0
	s_waitcnt vmcnt(0)
	v_and_b32_e32 v25, 0xffff, v2
	v_lshlrev_b64 v[2:3], s0, v[25:26]
	s_add_u32 s0, s0, 8
	s_addc_u32 s1, s1, 0
	v_or_b32_e32 v12, v2, v12
	s_cmp_lg_u32 s15, s12
	v_or_b32_e32 v13, v3, v13
	s_cbranch_scc1 .LBB2_51
	s_branch .LBB2_54
.LBB2_52:                               ;   in Loop: Header=BB2_32 Depth=1
	s_mov_b32 s14, 0
	s_branch .LBB2_55
.LBB2_53:                               ;   in Loop: Header=BB2_32 Depth=1
	v_mov_b32_e32 v12, 0
	v_mov_b32_e32 v13, 0
.LBB2_54:                               ;   in Loop: Header=BB2_32 Depth=1
	s_mov_b64 s[0:1], s[10:11]
	s_mov_b32 s14, 0
	s_cbranch_execnz .LBB2_56
.LBB2_55:                               ;   in Loop: Header=BB2_32 Depth=1
	global_load_dwordx2 v[12:13], v26, s[10:11]
	s_add_i32 s14, s15, -8
.LBB2_56:                               ;   in Loop: Header=BB2_32 Depth=1
	s_add_u32 s10, s0, 8
	s_addc_u32 s11, s1, 0
	s_cmp_gt_u32 s14, 7
	s_cbranch_scc1 .LBB2_60
; %bb.57:                               ;   in Loop: Header=BB2_32 Depth=1
	s_cmp_eq_u32 s14, 0
	s_cbranch_scc1 .LBB2_61
; %bb.58:                               ;   in Loop: Header=BB2_32 Depth=1
	v_mov_b32_e32 v14, 0
	s_mov_b64 s[10:11], 0
	v_mov_b32_e32 v15, 0
	s_mov_b64 s[12:13], 0
.LBB2_59:                               ;   Parent Loop BB2_32 Depth=1
                                        ; =>  This Inner Loop Header: Depth=2
	s_add_u32 s16, s0, s12
	s_addc_u32 s17, s1, s13
	global_load_ubyte v2, v26, s[16:17]
	s_add_u32 s12, s12, 1
	s_addc_u32 s13, s13, 0
	s_waitcnt vmcnt(0)
	v_and_b32_e32 v25, 0xffff, v2
	v_lshlrev_b64 v[2:3], s10, v[25:26]
	s_add_u32 s10, s10, 8
	s_addc_u32 s11, s11, 0
	v_or_b32_e32 v14, v2, v14
	s_cmp_lg_u32 s14, s12
	v_or_b32_e32 v15, v3, v15
	s_cbranch_scc1 .LBB2_59
	s_branch .LBB2_62
.LBB2_60:                               ;   in Loop: Header=BB2_32 Depth=1
                                        ; implicit-def: $vgpr14_vgpr15
	s_mov_b32 s15, 0
	s_branch .LBB2_63
.LBB2_61:                               ;   in Loop: Header=BB2_32 Depth=1
	v_mov_b32_e32 v14, 0
	v_mov_b32_e32 v15, 0
.LBB2_62:                               ;   in Loop: Header=BB2_32 Depth=1
	s_mov_b64 s[10:11], s[0:1]
	s_mov_b32 s15, 0
	s_cbranch_execnz .LBB2_64
.LBB2_63:                               ;   in Loop: Header=BB2_32 Depth=1
	global_load_dwordx2 v[14:15], v26, s[0:1]
	s_add_i32 s15, s14, -8
.LBB2_64:                               ;   in Loop: Header=BB2_32 Depth=1
	s_add_u32 s0, s10, 8
	s_addc_u32 s1, s11, 0
	s_cmp_gt_u32 s15, 7
	s_cbranch_scc1 .LBB2_68
; %bb.65:                               ;   in Loop: Header=BB2_32 Depth=1
	s_cmp_eq_u32 s15, 0
	s_cbranch_scc1 .LBB2_69
; %bb.66:                               ;   in Loop: Header=BB2_32 Depth=1
	v_mov_b32_e32 v16, 0
	s_mov_b64 s[0:1], 0
	v_mov_b32_e32 v17, 0
	s_mov_b64 s[12:13], 0
.LBB2_67:                               ;   Parent Loop BB2_32 Depth=1
                                        ; =>  This Inner Loop Header: Depth=2
	s_add_u32 s16, s10, s12
	s_addc_u32 s17, s11, s13
	global_load_ubyte v2, v26, s[16:17]
	s_add_u32 s12, s12, 1
	s_addc_u32 s13, s13, 0
	s_waitcnt vmcnt(0)
	v_and_b32_e32 v25, 0xffff, v2
	v_lshlrev_b64 v[2:3], s0, v[25:26]
	s_add_u32 s0, s0, 8
	s_addc_u32 s1, s1, 0
	v_or_b32_e32 v16, v2, v16
	s_cmp_lg_u32 s15, s12
	v_or_b32_e32 v17, v3, v17
	s_cbranch_scc1 .LBB2_67
	s_branch .LBB2_70
.LBB2_68:                               ;   in Loop: Header=BB2_32 Depth=1
	s_mov_b32 s14, 0
	s_branch .LBB2_71
.LBB2_69:                               ;   in Loop: Header=BB2_32 Depth=1
	v_mov_b32_e32 v16, 0
	v_mov_b32_e32 v17, 0
.LBB2_70:                               ;   in Loop: Header=BB2_32 Depth=1
	s_mov_b64 s[0:1], s[10:11]
	s_mov_b32 s14, 0
	s_cbranch_execnz .LBB2_72
.LBB2_71:                               ;   in Loop: Header=BB2_32 Depth=1
	global_load_dwordx2 v[16:17], v26, s[10:11]
	s_add_i32 s14, s15, -8
.LBB2_72:                               ;   in Loop: Header=BB2_32 Depth=1
	s_add_u32 s10, s0, 8
	s_addc_u32 s11, s1, 0
	s_cmp_gt_u32 s14, 7
	s_cbranch_scc1 .LBB2_76
; %bb.73:                               ;   in Loop: Header=BB2_32 Depth=1
	s_cmp_eq_u32 s14, 0
	s_cbranch_scc1 .LBB2_77
; %bb.74:                               ;   in Loop: Header=BB2_32 Depth=1
	v_mov_b32_e32 v18, 0
	s_mov_b64 s[10:11], 0
	v_mov_b32_e32 v19, 0
	s_mov_b64 s[12:13], 0
.LBB2_75:                               ;   Parent Loop BB2_32 Depth=1
                                        ; =>  This Inner Loop Header: Depth=2
	s_add_u32 s16, s0, s12
	s_addc_u32 s17, s1, s13
	global_load_ubyte v2, v26, s[16:17]
	s_add_u32 s12, s12, 1
	s_addc_u32 s13, s13, 0
	s_waitcnt vmcnt(0)
	v_and_b32_e32 v25, 0xffff, v2
	v_lshlrev_b64 v[2:3], s10, v[25:26]
	s_add_u32 s10, s10, 8
	s_addc_u32 s11, s11, 0
	v_or_b32_e32 v18, v2, v18
	s_cmp_lg_u32 s14, s12
	v_or_b32_e32 v19, v3, v19
	s_cbranch_scc1 .LBB2_75
	s_branch .LBB2_78
.LBB2_76:                               ;   in Loop: Header=BB2_32 Depth=1
                                        ; implicit-def: $vgpr18_vgpr19
	s_mov_b32 s15, 0
	s_branch .LBB2_79
.LBB2_77:                               ;   in Loop: Header=BB2_32 Depth=1
	v_mov_b32_e32 v18, 0
	v_mov_b32_e32 v19, 0
.LBB2_78:                               ;   in Loop: Header=BB2_32 Depth=1
	s_mov_b64 s[10:11], s[0:1]
	s_mov_b32 s15, 0
	s_cbranch_execnz .LBB2_80
.LBB2_79:                               ;   in Loop: Header=BB2_32 Depth=1
	global_load_dwordx2 v[18:19], v26, s[0:1]
	s_add_i32 s15, s14, -8
.LBB2_80:                               ;   in Loop: Header=BB2_32 Depth=1
	s_cmp_gt_u32 s15, 7
	s_cbranch_scc1 .LBB2_84
; %bb.81:                               ;   in Loop: Header=BB2_32 Depth=1
	s_cmp_eq_u32 s15, 0
	s_cbranch_scc1 .LBB2_85
; %bb.82:                               ;   in Loop: Header=BB2_32 Depth=1
	v_mov_b32_e32 v20, 0
	s_mov_b64 s[0:1], 0
	v_mov_b32_e32 v21, 0
	s_mov_b64 s[12:13], s[10:11]
.LBB2_83:                               ;   Parent Loop BB2_32 Depth=1
                                        ; =>  This Inner Loop Header: Depth=2
	global_load_ubyte v2, v26, s[12:13]
	s_add_i32 s15, s15, -1
	s_waitcnt vmcnt(0)
	v_and_b32_e32 v25, 0xffff, v2
	v_lshlrev_b64 v[2:3], s0, v[25:26]
	s_add_u32 s0, s0, 8
	s_addc_u32 s1, s1, 0
	s_add_u32 s12, s12, 1
	s_addc_u32 s13, s13, 0
	v_or_b32_e32 v20, v2, v20
	s_cmp_lg_u32 s15, 0
	v_or_b32_e32 v21, v3, v21
	s_cbranch_scc1 .LBB2_83
	s_branch .LBB2_86
.LBB2_84:                               ;   in Loop: Header=BB2_32 Depth=1
	s_branch .LBB2_87
.LBB2_85:                               ;   in Loop: Header=BB2_32 Depth=1
	v_mov_b32_e32 v20, 0
	v_mov_b32_e32 v21, 0
.LBB2_86:                               ;   in Loop: Header=BB2_32 Depth=1
	s_cbranch_execnz .LBB2_88
.LBB2_87:                               ;   in Loop: Header=BB2_32 Depth=1
	global_load_dwordx2 v[20:21], v26, s[10:11]
.LBB2_88:                               ;   in Loop: Header=BB2_32 Depth=1
	v_readfirstlane_b32 s0, v30
	v_mov_b32_e32 v2, 0
	v_mov_b32_e32 v3, 0
	v_cmp_eq_u32_e64 s[0:1], s0, v30
	s_and_saveexec_b64 s[10:11], s[0:1]
	s_cbranch_execz .LBB2_94
; %bb.89:                               ;   in Loop: Header=BB2_32 Depth=1
	global_load_dwordx2 v[24:25], v26, s[2:3] offset:24 glc
	s_waitcnt vmcnt(0)
	buffer_wbinvl1_vol
	global_load_dwordx2 v[2:3], v26, s[2:3] offset:40
	global_load_dwordx2 v[22:23], v26, s[2:3]
	s_waitcnt vmcnt(1)
	v_and_b32_e32 v2, v2, v24
	v_and_b32_e32 v3, v3, v25
	v_mul_lo_u32 v3, v3, 24
	v_mul_hi_u32 v27, v2, 24
	v_mul_lo_u32 v2, v2, 24
	v_add_u32_e32 v3, v27, v3
	s_waitcnt vmcnt(0)
	v_add_co_u32_e32 v2, vcc, v22, v2
	v_addc_co_u32_e32 v3, vcc, v23, v3, vcc
	global_load_dwordx2 v[22:23], v[2:3], off glc
	s_waitcnt vmcnt(0)
	global_atomic_cmpswap_x2 v[2:3], v26, v[22:25], s[2:3] offset:24 glc
	s_waitcnt vmcnt(0)
	buffer_wbinvl1_vol
	v_cmp_ne_u64_e32 vcc, v[2:3], v[24:25]
	s_and_saveexec_b64 s[12:13], vcc
	s_cbranch_execz .LBB2_93
; %bb.90:                               ;   in Loop: Header=BB2_32 Depth=1
	s_mov_b64 s[14:15], 0
.LBB2_91:                               ;   Parent Loop BB2_32 Depth=1
                                        ; =>  This Inner Loop Header: Depth=2
	s_sleep 1
	global_load_dwordx2 v[22:23], v26, s[2:3] offset:40
	global_load_dwordx2 v[27:28], v26, s[2:3]
	v_mov_b32_e32 v25, v3
	v_mov_b32_e32 v24, v2
	s_waitcnt vmcnt(1)
	v_and_b32_e32 v2, v22, v24
	s_waitcnt vmcnt(0)
	v_mad_u64_u32 v[2:3], s[16:17], v2, 24, v[27:28]
	v_and_b32_e32 v22, v23, v25
	v_mad_u64_u32 v[22:23], s[16:17], v22, 24, v[3:4]
	v_mov_b32_e32 v3, v22
	global_load_dwordx2 v[22:23], v[2:3], off glc
	s_waitcnt vmcnt(0)
	global_atomic_cmpswap_x2 v[2:3], v26, v[22:25], s[2:3] offset:24 glc
	s_waitcnt vmcnt(0)
	buffer_wbinvl1_vol
	v_cmp_eq_u64_e32 vcc, v[2:3], v[24:25]
	s_or_b64 s[14:15], vcc, s[14:15]
	s_andn2_b64 exec, exec, s[14:15]
	s_cbranch_execnz .LBB2_91
; %bb.92:                               ;   in Loop: Header=BB2_32 Depth=1
	s_or_b64 exec, exec, s[14:15]
.LBB2_93:                               ;   in Loop: Header=BB2_32 Depth=1
	s_or_b64 exec, exec, s[12:13]
.LBB2_94:                               ;   in Loop: Header=BB2_32 Depth=1
	s_or_b64 exec, exec, s[10:11]
	global_load_dwordx2 v[27:28], v26, s[2:3] offset:40
	global_load_dwordx4 v[22:25], v26, s[2:3]
	v_readfirstlane_b32 s11, v3
	v_readfirstlane_b32 s10, v2
	s_mov_b64 s[12:13], exec
	s_waitcnt vmcnt(1)
	v_readfirstlane_b32 s14, v27
	v_readfirstlane_b32 s15, v28
	s_and_b64 s[14:15], s[14:15], s[10:11]
	s_mul_i32 s16, s15, 24
	s_mul_hi_u32 s17, s14, 24
	s_mul_i32 s18, s14, 24
	s_add_i32 s16, s17, s16
	v_mov_b32_e32 v2, s16
	s_waitcnt vmcnt(0)
	v_add_co_u32_e32 v27, vcc, s18, v22
	v_addc_co_u32_e32 v28, vcc, v23, v2, vcc
	s_and_saveexec_b64 s[16:17], s[0:1]
	s_cbranch_execz .LBB2_96
; %bb.95:                               ;   in Loop: Header=BB2_32 Depth=1
	v_mov_b32_e32 v2, s12
	v_mov_b32_e32 v3, s13
	global_store_dwordx4 v[27:28], v[2:5], off offset:8
.LBB2_96:                               ;   in Loop: Header=BB2_32 Depth=1
	s_or_b64 exec, exec, s[16:17]
	s_lshl_b64 s[12:13], s[14:15], 12
	v_cmp_gt_u64_e64 s[14:15], s[4:5], 56
	v_mov_b32_e32 v2, s13
	v_add_co_u32_e32 v24, vcc, s12, v24
	s_and_b64 s[12:13], s[14:15], exec
	s_cselect_b32 s12, 0, 2
	s_lshl_b32 s13, s8, 2
	v_addc_co_u32_e32 v31, vcc, v25, v2, vcc
	s_add_i32 s13, s13, 28
	v_and_b32_e32 v2, 0xffffff1f, v6
	s_and_b32 s13, s13, 0x1e0
	v_or_b32_e32 v2, s12, v2
	v_or_b32_e32 v6, s13, v2
	v_readfirstlane_b32 s12, v24
	v_readfirstlane_b32 s13, v31
	s_nop 4
	global_store_dwordx4 v29, v[6:9], s[12:13]
	global_store_dwordx4 v29, v[10:13], s[12:13] offset:16
	global_store_dwordx4 v29, v[14:17], s[12:13] offset:32
	global_store_dwordx4 v29, v[18:21], s[12:13] offset:48
	s_and_saveexec_b64 s[12:13], s[0:1]
	s_cbranch_execz .LBB2_104
; %bb.97:                               ;   in Loop: Header=BB2_32 Depth=1
	global_load_dwordx2 v[10:11], v26, s[2:3] offset:32 glc
	global_load_dwordx2 v[2:3], v26, s[2:3] offset:40
	v_mov_b32_e32 v8, s10
	v_mov_b32_e32 v9, s11
	s_waitcnt vmcnt(0)
	v_readfirstlane_b32 s14, v2
	v_readfirstlane_b32 s15, v3
	s_and_b64 s[14:15], s[14:15], s[10:11]
	s_mul_i32 s15, s15, 24
	s_mul_hi_u32 s16, s14, 24
	s_mul_i32 s14, s14, 24
	s_add_i32 s15, s16, s15
	v_mov_b32_e32 v3, s15
	v_add_co_u32_e32 v2, vcc, s14, v22
	v_addc_co_u32_e32 v3, vcc, v23, v3, vcc
	global_store_dwordx2 v[2:3], v[10:11], off
	s_waitcnt vmcnt(0)
	global_atomic_cmpswap_x2 v[8:9], v26, v[8:11], s[2:3] offset:32 glc
	s_waitcnt vmcnt(0)
	v_cmp_ne_u64_e32 vcc, v[8:9], v[10:11]
	s_and_saveexec_b64 s[14:15], vcc
	s_cbranch_execz .LBB2_100
; %bb.98:                               ;   in Loop: Header=BB2_32 Depth=1
	s_mov_b64 s[16:17], 0
.LBB2_99:                               ;   Parent Loop BB2_32 Depth=1
                                        ; =>  This Inner Loop Header: Depth=2
	s_sleep 1
	global_store_dwordx2 v[2:3], v[8:9], off
	v_mov_b32_e32 v6, s10
	v_mov_b32_e32 v7, s11
	s_waitcnt vmcnt(0)
	global_atomic_cmpswap_x2 v[6:7], v26, v[6:9], s[2:3] offset:32 glc
	s_waitcnt vmcnt(0)
	v_cmp_eq_u64_e32 vcc, v[6:7], v[8:9]
	v_mov_b32_e32 v9, v7
	s_or_b64 s[16:17], vcc, s[16:17]
	v_mov_b32_e32 v8, v6
	s_andn2_b64 exec, exec, s[16:17]
	s_cbranch_execnz .LBB2_99
.LBB2_100:                              ;   in Loop: Header=BB2_32 Depth=1
	s_or_b64 exec, exec, s[14:15]
	global_load_dwordx2 v[2:3], v26, s[2:3] offset:16
	s_mov_b64 s[16:17], exec
	v_mbcnt_lo_u32_b32 v6, s16, 0
	v_mbcnt_hi_u32_b32 v6, s17, v6
	v_cmp_eq_u32_e32 vcc, 0, v6
	s_and_saveexec_b64 s[14:15], vcc
	s_cbranch_execz .LBB2_102
; %bb.101:                              ;   in Loop: Header=BB2_32 Depth=1
	s_bcnt1_i32_b64 s16, s[16:17]
	v_mov_b32_e32 v25, s16
	s_waitcnt vmcnt(0)
	global_atomic_add_x2 v[2:3], v[25:26], off offset:8
.LBB2_102:                              ;   in Loop: Header=BB2_32 Depth=1
	s_or_b64 exec, exec, s[14:15]
	s_waitcnt vmcnt(0)
	global_load_dwordx2 v[6:7], v[2:3], off offset:16
	s_waitcnt vmcnt(0)
	v_cmp_eq_u64_e32 vcc, 0, v[6:7]
	s_cbranch_vccnz .LBB2_104
; %bb.103:                              ;   in Loop: Header=BB2_32 Depth=1
	global_load_dword v25, v[2:3], off offset:24
	s_waitcnt vmcnt(0)
	v_readfirstlane_b32 s14, v25
	s_and_b32 m0, s14, 0xffffff
	global_store_dwordx2 v[6:7], v[25:26], off
	s_sendmsg sendmsg(MSG_INTERRUPT)
.LBB2_104:                              ;   in Loop: Header=BB2_32 Depth=1
	s_or_b64 exec, exec, s[12:13]
	v_add_co_u32_e32 v2, vcc, v24, v29
	v_addc_co_u32_e32 v3, vcc, 0, v31, vcc
	s_branch .LBB2_108
.LBB2_105:                              ;   in Loop: Header=BB2_108 Depth=2
	s_or_b64 exec, exec, s[12:13]
	v_readfirstlane_b32 s12, v6
	s_cmp_eq_u32 s12, 0
	s_cbranch_scc1 .LBB2_107
; %bb.106:                              ;   in Loop: Header=BB2_108 Depth=2
	s_sleep 1
	s_cbranch_execnz .LBB2_108
	s_branch .LBB2_110
.LBB2_107:                              ;   in Loop: Header=BB2_32 Depth=1
	s_branch .LBB2_110
.LBB2_108:                              ;   Parent Loop BB2_32 Depth=1
                                        ; =>  This Inner Loop Header: Depth=2
	v_mov_b32_e32 v6, 1
	s_and_saveexec_b64 s[12:13], s[0:1]
	s_cbranch_execz .LBB2_105
; %bb.109:                              ;   in Loop: Header=BB2_108 Depth=2
	global_load_dword v6, v[27:28], off offset:20 glc
	s_waitcnt vmcnt(0)
	buffer_wbinvl1_vol
	v_and_b32_e32 v6, 1, v6
	s_branch .LBB2_105
.LBB2_110:                              ;   in Loop: Header=BB2_32 Depth=1
	global_load_dwordx4 v[6:9], v[2:3], off
	s_and_saveexec_b64 s[12:13], s[0:1]
	s_cbranch_execz .LBB2_31
; %bb.111:                              ;   in Loop: Header=BB2_32 Depth=1
	global_load_dwordx2 v[2:3], v26, s[2:3] offset:40
	global_load_dwordx2 v[12:13], v26, s[2:3] offset:24 glc
	global_load_dwordx2 v[8:9], v26, s[2:3]
	s_waitcnt vmcnt(2)
	v_readfirstlane_b32 s14, v2
	v_readfirstlane_b32 s15, v3
	s_add_u32 s16, s14, 1
	s_addc_u32 s17, s15, 0
	s_add_u32 s0, s16, s10
	s_addc_u32 s1, s17, s11
	s_cmp_eq_u64 s[0:1], 0
	s_cselect_b32 s1, s17, s1
	s_cselect_b32 s0, s16, s0
	s_and_b64 s[10:11], s[0:1], s[14:15]
	s_mul_i32 s11, s11, 24
	s_mul_hi_u32 s14, s10, 24
	s_mul_i32 s10, s10, 24
	s_add_i32 s11, s14, s11
	v_mov_b32_e32 v3, s11
	s_waitcnt vmcnt(0)
	v_add_co_u32_e32 v2, vcc, s10, v8
	v_addc_co_u32_e32 v3, vcc, v9, v3, vcc
	v_mov_b32_e32 v10, s0
	global_store_dwordx2 v[2:3], v[12:13], off
	v_mov_b32_e32 v11, s1
	s_waitcnt vmcnt(0)
	global_atomic_cmpswap_x2 v[10:11], v26, v[10:13], s[2:3] offset:24 glc
	s_waitcnt vmcnt(0)
	v_cmp_ne_u64_e32 vcc, v[10:11], v[12:13]
	s_and_b64 exec, exec, vcc
	s_cbranch_execz .LBB2_31
; %bb.112:                              ;   in Loop: Header=BB2_32 Depth=1
	s_mov_b64 s[10:11], 0
.LBB2_113:                              ;   Parent Loop BB2_32 Depth=1
                                        ; =>  This Inner Loop Header: Depth=2
	s_sleep 1
	global_store_dwordx2 v[2:3], v[10:11], off
	v_mov_b32_e32 v8, s0
	v_mov_b32_e32 v9, s1
	s_waitcnt vmcnt(0)
	global_atomic_cmpswap_x2 v[8:9], v26, v[8:11], s[2:3] offset:24 glc
	s_waitcnt vmcnt(0)
	v_cmp_eq_u64_e32 vcc, v[8:9], v[10:11]
	v_mov_b32_e32 v11, v9
	s_or_b64 s[10:11], vcc, s[10:11]
	v_mov_b32_e32 v10, v8
	s_andn2_b64 exec, exec, s[10:11]
	s_cbranch_execnz .LBB2_113
	s_branch .LBB2_31
.LBB2_114:
	s_branch .LBB2_141
.LBB2_115:
	s_cbranch_execz .LBB2_141
; %bb.116:
	v_readfirstlane_b32 s0, v30
	s_waitcnt vmcnt(0)
	v_mov_b32_e32 v8, 0
	v_mov_b32_e32 v9, 0
	v_cmp_eq_u32_e64 s[0:1], s0, v30
	s_and_saveexec_b64 s[4:5], s[0:1]
	s_cbranch_execz .LBB2_122
; %bb.117:
	v_mov_b32_e32 v2, 0
	global_load_dwordx2 v[5:6], v2, s[2:3] offset:24 glc
	s_waitcnt vmcnt(0)
	buffer_wbinvl1_vol
	global_load_dwordx2 v[3:4], v2, s[2:3] offset:40
	global_load_dwordx2 v[7:8], v2, s[2:3]
	s_waitcnt vmcnt(1)
	v_and_b32_e32 v3, v3, v5
	v_and_b32_e32 v4, v4, v6
	v_mul_lo_u32 v4, v4, 24
	v_mul_hi_u32 v9, v3, 24
	v_mul_lo_u32 v3, v3, 24
	v_add_u32_e32 v4, v9, v4
	s_waitcnt vmcnt(0)
	v_add_co_u32_e32 v3, vcc, v7, v3
	v_addc_co_u32_e32 v4, vcc, v8, v4, vcc
	global_load_dwordx2 v[3:4], v[3:4], off glc
	s_waitcnt vmcnt(0)
	global_atomic_cmpswap_x2 v[8:9], v2, v[3:6], s[2:3] offset:24 glc
	s_waitcnt vmcnt(0)
	buffer_wbinvl1_vol
	v_cmp_ne_u64_e32 vcc, v[8:9], v[5:6]
	s_and_saveexec_b64 s[6:7], vcc
	s_cbranch_execz .LBB2_121
; %bb.118:
	s_mov_b64 s[8:9], 0
.LBB2_119:                              ; =>This Inner Loop Header: Depth=1
	s_sleep 1
	global_load_dwordx2 v[3:4], v2, s[2:3] offset:40
	global_load_dwordx2 v[10:11], v2, s[2:3]
	v_mov_b32_e32 v5, v8
	v_mov_b32_e32 v6, v9
	s_waitcnt vmcnt(1)
	v_and_b32_e32 v3, v3, v5
	s_waitcnt vmcnt(0)
	v_mad_u64_u32 v[7:8], s[10:11], v3, 24, v[10:11]
	v_and_b32_e32 v4, v4, v6
	v_mov_b32_e32 v3, v8
	v_mad_u64_u32 v[3:4], s[10:11], v4, 24, v[3:4]
	v_mov_b32_e32 v8, v3
	global_load_dwordx2 v[3:4], v[7:8], off glc
	s_waitcnt vmcnt(0)
	global_atomic_cmpswap_x2 v[8:9], v2, v[3:6], s[2:3] offset:24 glc
	s_waitcnt vmcnt(0)
	buffer_wbinvl1_vol
	v_cmp_eq_u64_e32 vcc, v[8:9], v[5:6]
	s_or_b64 s[8:9], vcc, s[8:9]
	s_andn2_b64 exec, exec, s[8:9]
	s_cbranch_execnz .LBB2_119
; %bb.120:
	s_or_b64 exec, exec, s[8:9]
.LBB2_121:
	s_or_b64 exec, exec, s[6:7]
.LBB2_122:
	s_or_b64 exec, exec, s[4:5]
	v_mov_b32_e32 v2, 0
	global_load_dwordx2 v[10:11], v2, s[2:3] offset:40
	global_load_dwordx4 v[4:7], v2, s[2:3]
	v_readfirstlane_b32 s5, v9
	v_readfirstlane_b32 s4, v8
	s_mov_b64 s[6:7], exec
	s_waitcnt vmcnt(1)
	v_readfirstlane_b32 s8, v10
	v_readfirstlane_b32 s9, v11
	s_and_b64 s[8:9], s[8:9], s[4:5]
	s_mul_i32 s10, s9, 24
	s_mul_hi_u32 s11, s8, 24
	s_mul_i32 s12, s8, 24
	s_add_i32 s10, s11, s10
	v_mov_b32_e32 v3, s10
	s_waitcnt vmcnt(0)
	v_add_co_u32_e32 v8, vcc, s12, v4
	v_addc_co_u32_e32 v9, vcc, v5, v3, vcc
	s_and_saveexec_b64 s[10:11], s[0:1]
	s_cbranch_execz .LBB2_124
; %bb.123:
	v_mov_b32_e32 v11, s7
	v_mov_b32_e32 v10, s6
	;; [unrolled: 1-line block ×4, first 2 shown]
	global_store_dwordx4 v[8:9], v[10:13], off offset:8
.LBB2_124:
	s_or_b64 exec, exec, s[10:11]
	s_lshl_b64 s[6:7], s[8:9], 12
	v_mov_b32_e32 v3, s7
	v_add_co_u32_e32 v6, vcc, s6, v6
	v_addc_co_u32_e32 v7, vcc, v7, v3, vcc
	s_movk_i32 s6, 0xff1d
	v_and_or_b32 v0, v0, s6, 34
	s_mov_b32 s8, 0
	v_mov_b32_e32 v3, v2
	v_readfirstlane_b32 s6, v6
	v_readfirstlane_b32 s7, v7
	s_mov_b32 s9, s8
	s_mov_b32 s10, s8
	s_mov_b32 s11, s8
	s_nop 1
	global_store_dwordx4 v29, v[0:3], s[6:7]
	s_nop 0
	v_mov_b32_e32 v0, s8
	v_mov_b32_e32 v1, s9
	v_mov_b32_e32 v2, s10
	v_mov_b32_e32 v3, s11
	global_store_dwordx4 v29, v[0:3], s[6:7] offset:16
	global_store_dwordx4 v29, v[0:3], s[6:7] offset:32
	;; [unrolled: 1-line block ×3, first 2 shown]
	s_and_saveexec_b64 s[6:7], s[0:1]
	s_cbranch_execz .LBB2_132
; %bb.125:
	v_mov_b32_e32 v6, 0
	global_load_dwordx2 v[12:13], v6, s[2:3] offset:32 glc
	global_load_dwordx2 v[0:1], v6, s[2:3] offset:40
	v_mov_b32_e32 v10, s4
	v_mov_b32_e32 v11, s5
	s_waitcnt vmcnt(0)
	v_readfirstlane_b32 s8, v0
	v_readfirstlane_b32 s9, v1
	s_and_b64 s[8:9], s[8:9], s[4:5]
	s_mul_i32 s9, s9, 24
	s_mul_hi_u32 s10, s8, 24
	s_mul_i32 s8, s8, 24
	s_add_i32 s9, s10, s9
	v_mov_b32_e32 v0, s9
	v_add_co_u32_e32 v4, vcc, s8, v4
	v_addc_co_u32_e32 v5, vcc, v5, v0, vcc
	global_store_dwordx2 v[4:5], v[12:13], off
	s_waitcnt vmcnt(0)
	global_atomic_cmpswap_x2 v[2:3], v6, v[10:13], s[2:3] offset:32 glc
	s_waitcnt vmcnt(0)
	v_cmp_ne_u64_e32 vcc, v[2:3], v[12:13]
	s_and_saveexec_b64 s[8:9], vcc
	s_cbranch_execz .LBB2_128
; %bb.126:
	s_mov_b64 s[10:11], 0
.LBB2_127:                              ; =>This Inner Loop Header: Depth=1
	s_sleep 1
	global_store_dwordx2 v[4:5], v[2:3], off
	v_mov_b32_e32 v0, s4
	v_mov_b32_e32 v1, s5
	s_waitcnt vmcnt(0)
	global_atomic_cmpswap_x2 v[0:1], v6, v[0:3], s[2:3] offset:32 glc
	s_waitcnt vmcnt(0)
	v_cmp_eq_u64_e32 vcc, v[0:1], v[2:3]
	v_mov_b32_e32 v3, v1
	s_or_b64 s[10:11], vcc, s[10:11]
	v_mov_b32_e32 v2, v0
	s_andn2_b64 exec, exec, s[10:11]
	s_cbranch_execnz .LBB2_127
.LBB2_128:
	s_or_b64 exec, exec, s[8:9]
	v_mov_b32_e32 v3, 0
	global_load_dwordx2 v[0:1], v3, s[2:3] offset:16
	s_mov_b64 s[8:9], exec
	v_mbcnt_lo_u32_b32 v2, s8, 0
	v_mbcnt_hi_u32_b32 v2, s9, v2
	v_cmp_eq_u32_e32 vcc, 0, v2
	s_and_saveexec_b64 s[10:11], vcc
	s_cbranch_execz .LBB2_130
; %bb.129:
	s_bcnt1_i32_b64 s8, s[8:9]
	v_mov_b32_e32 v2, s8
	s_waitcnt vmcnt(0)
	global_atomic_add_x2 v[0:1], v[2:3], off offset:8
.LBB2_130:
	s_or_b64 exec, exec, s[10:11]
	s_waitcnt vmcnt(0)
	global_load_dwordx2 v[2:3], v[0:1], off offset:16
	s_waitcnt vmcnt(0)
	v_cmp_eq_u64_e32 vcc, 0, v[2:3]
	s_cbranch_vccnz .LBB2_132
; %bb.131:
	global_load_dword v0, v[0:1], off offset:24
	v_mov_b32_e32 v1, 0
	s_waitcnt vmcnt(0)
	v_readfirstlane_b32 s8, v0
	s_and_b32 m0, s8, 0xffffff
	global_store_dwordx2 v[2:3], v[0:1], off
	s_sendmsg sendmsg(MSG_INTERRUPT)
.LBB2_132:
	s_or_b64 exec, exec, s[6:7]
	s_branch .LBB2_136
.LBB2_133:                              ;   in Loop: Header=BB2_136 Depth=1
	s_or_b64 exec, exec, s[6:7]
	v_readfirstlane_b32 s6, v0
	s_cmp_eq_u32 s6, 0
	s_cbranch_scc1 .LBB2_135
; %bb.134:                              ;   in Loop: Header=BB2_136 Depth=1
	s_sleep 1
	s_cbranch_execnz .LBB2_136
	s_branch .LBB2_138
.LBB2_135:
	s_branch .LBB2_138
.LBB2_136:                              ; =>This Inner Loop Header: Depth=1
	v_mov_b32_e32 v0, 1
	s_and_saveexec_b64 s[6:7], s[0:1]
	s_cbranch_execz .LBB2_133
; %bb.137:                              ;   in Loop: Header=BB2_136 Depth=1
	global_load_dword v0, v[8:9], off offset:20 glc
	s_waitcnt vmcnt(0)
	buffer_wbinvl1_vol
	v_and_b32_e32 v0, 1, v0
	s_branch .LBB2_133
.LBB2_138:
	s_and_saveexec_b64 s[6:7], s[0:1]
	s_cbranch_execz .LBB2_141
; %bb.139:
	v_mov_b32_e32 v6, 0
	global_load_dwordx2 v[0:1], v6, s[2:3] offset:40
	global_load_dwordx2 v[9:10], v6, s[2:3] offset:24 glc
	global_load_dwordx2 v[2:3], v6, s[2:3]
	s_waitcnt vmcnt(2)
	v_readfirstlane_b32 s6, v0
	v_readfirstlane_b32 s7, v1
	s_add_u32 s8, s6, 1
	s_addc_u32 s9, s7, 0
	s_add_u32 s0, s8, s4
	s_addc_u32 s1, s9, s5
	s_cmp_eq_u64 s[0:1], 0
	s_cselect_b32 s1, s9, s1
	s_cselect_b32 s0, s8, s0
	s_and_b64 s[4:5], s[0:1], s[6:7]
	s_mul_i32 s5, s5, 24
	s_mul_hi_u32 s6, s4, 24
	s_mul_i32 s4, s4, 24
	s_add_i32 s5, s6, s5
	v_mov_b32_e32 v0, s5
	s_waitcnt vmcnt(0)
	v_add_co_u32_e32 v4, vcc, s4, v2
	v_addc_co_u32_e32 v5, vcc, v3, v0, vcc
	v_mov_b32_e32 v7, s0
	global_store_dwordx2 v[4:5], v[9:10], off
	v_mov_b32_e32 v8, s1
	s_waitcnt vmcnt(0)
	global_atomic_cmpswap_x2 v[2:3], v6, v[7:10], s[2:3] offset:24 glc
	s_mov_b64 s[4:5], 0
	s_waitcnt vmcnt(0)
	v_cmp_ne_u64_e32 vcc, v[2:3], v[9:10]
	s_and_b64 exec, exec, vcc
	s_cbranch_execz .LBB2_141
.LBB2_140:                              ; =>This Inner Loop Header: Depth=1
	s_sleep 1
	global_store_dwordx2 v[4:5], v[2:3], off
	v_mov_b32_e32 v0, s0
	v_mov_b32_e32 v1, s1
	s_waitcnt vmcnt(0)
	global_atomic_cmpswap_x2 v[0:1], v6, v[0:3], s[2:3] offset:24 glc
	s_waitcnt vmcnt(0)
	v_cmp_eq_u64_e32 vcc, v[0:1], v[2:3]
	v_mov_b32_e32 v3, v1
	s_or_b64 s[4:5], vcc, s[4:5]
	v_mov_b32_e32 v2, v0
	s_andn2_b64 exec, exec, s[4:5]
	s_cbranch_execnz .LBB2_140
.LBB2_141:
	s_endpgm
	.section	.rodata,"a",@progbits
	.p2align	6, 0x0
	.amdhsa_kernel _ZN2at6native30tinygemm_m16n8k16_chunk_kernelINS0_10ALayout_RMILNS0_14KReductionTypeE0EEENS0_15BLayout_TC_int4ILi8ELi32EEES4_Li8ELi8EEEvPKvS8_S8_Pviiiiii
		.amdhsa_group_segment_fixed_size 0
		.amdhsa_private_segment_fixed_size 0
		.amdhsa_kernarg_size 312
		.amdhsa_user_sgpr_count 6
		.amdhsa_user_sgpr_private_segment_buffer 1
		.amdhsa_user_sgpr_dispatch_ptr 0
		.amdhsa_user_sgpr_queue_ptr 0
		.amdhsa_user_sgpr_kernarg_segment_ptr 1
		.amdhsa_user_sgpr_dispatch_id 0
		.amdhsa_user_sgpr_flat_scratch_init 0
		.amdhsa_user_sgpr_private_segment_size 0
		.amdhsa_uses_dynamic_stack 0
		.amdhsa_system_sgpr_private_segment_wavefront_offset 0
		.amdhsa_system_sgpr_workgroup_id_x 1
		.amdhsa_system_sgpr_workgroup_id_y 0
		.amdhsa_system_sgpr_workgroup_id_z 0
		.amdhsa_system_sgpr_workgroup_info 0
		.amdhsa_system_vgpr_workitem_id 0
		.amdhsa_next_free_vgpr 32
		.amdhsa_next_free_sgpr 19
		.amdhsa_reserve_vcc 1
		.amdhsa_reserve_flat_scratch 0
		.amdhsa_float_round_mode_32 0
		.amdhsa_float_round_mode_16_64 0
		.amdhsa_float_denorm_mode_32 3
		.amdhsa_float_denorm_mode_16_64 3
		.amdhsa_dx10_clamp 1
		.amdhsa_ieee_mode 1
		.amdhsa_fp16_overflow 0
		.amdhsa_exception_fp_ieee_invalid_op 0
		.amdhsa_exception_fp_denorm_src 0
		.amdhsa_exception_fp_ieee_div_zero 0
		.amdhsa_exception_fp_ieee_overflow 0
		.amdhsa_exception_fp_ieee_underflow 0
		.amdhsa_exception_fp_ieee_inexact 0
		.amdhsa_exception_int_div_zero 0
	.end_amdhsa_kernel
	.section	.text._ZN2at6native30tinygemm_m16n8k16_chunk_kernelINS0_10ALayout_RMILNS0_14KReductionTypeE0EEENS0_15BLayout_TC_int4ILi8ELi32EEES4_Li8ELi8EEEvPKvS8_S8_Pviiiiii,"axG",@progbits,_ZN2at6native30tinygemm_m16n8k16_chunk_kernelINS0_10ALayout_RMILNS0_14KReductionTypeE0EEENS0_15BLayout_TC_int4ILi8ELi32EEES4_Li8ELi8EEEvPKvS8_S8_Pviiiiii,comdat
.Lfunc_end2:
	.size	_ZN2at6native30tinygemm_m16n8k16_chunk_kernelINS0_10ALayout_RMILNS0_14KReductionTypeE0EEENS0_15BLayout_TC_int4ILi8ELi32EEES4_Li8ELi8EEEvPKvS8_S8_Pviiiiii, .Lfunc_end2-_ZN2at6native30tinygemm_m16n8k16_chunk_kernelINS0_10ALayout_RMILNS0_14KReductionTypeE0EEENS0_15BLayout_TC_int4ILi8ELi32EEES4_Li8ELi8EEEvPKvS8_S8_Pviiiiii
                                        ; -- End function
	.set _ZN2at6native30tinygemm_m16n8k16_chunk_kernelINS0_10ALayout_RMILNS0_14KReductionTypeE0EEENS0_15BLayout_TC_int4ILi8ELi32EEES4_Li8ELi8EEEvPKvS8_S8_Pviiiiii.num_vgpr, 32
	.set _ZN2at6native30tinygemm_m16n8k16_chunk_kernelINS0_10ALayout_RMILNS0_14KReductionTypeE0EEENS0_15BLayout_TC_int4ILi8ELi32EEES4_Li8ELi8EEEvPKvS8_S8_Pviiiiii.num_agpr, 0
	.set _ZN2at6native30tinygemm_m16n8k16_chunk_kernelINS0_10ALayout_RMILNS0_14KReductionTypeE0EEENS0_15BLayout_TC_int4ILi8ELi32EEES4_Li8ELi8EEEvPKvS8_S8_Pviiiiii.numbered_sgpr, 19
	.set _ZN2at6native30tinygemm_m16n8k16_chunk_kernelINS0_10ALayout_RMILNS0_14KReductionTypeE0EEENS0_15BLayout_TC_int4ILi8ELi32EEES4_Li8ELi8EEEvPKvS8_S8_Pviiiiii.num_named_barrier, 0
	.set _ZN2at6native30tinygemm_m16n8k16_chunk_kernelINS0_10ALayout_RMILNS0_14KReductionTypeE0EEENS0_15BLayout_TC_int4ILi8ELi32EEES4_Li8ELi8EEEvPKvS8_S8_Pviiiiii.private_seg_size, 0
	.set _ZN2at6native30tinygemm_m16n8k16_chunk_kernelINS0_10ALayout_RMILNS0_14KReductionTypeE0EEENS0_15BLayout_TC_int4ILi8ELi32EEES4_Li8ELi8EEEvPKvS8_S8_Pviiiiii.uses_vcc, 1
	.set _ZN2at6native30tinygemm_m16n8k16_chunk_kernelINS0_10ALayout_RMILNS0_14KReductionTypeE0EEENS0_15BLayout_TC_int4ILi8ELi32EEES4_Li8ELi8EEEvPKvS8_S8_Pviiiiii.uses_flat_scratch, 0
	.set _ZN2at6native30tinygemm_m16n8k16_chunk_kernelINS0_10ALayout_RMILNS0_14KReductionTypeE0EEENS0_15BLayout_TC_int4ILi8ELi32EEES4_Li8ELi8EEEvPKvS8_S8_Pviiiiii.has_dyn_sized_stack, 0
	.set _ZN2at6native30tinygemm_m16n8k16_chunk_kernelINS0_10ALayout_RMILNS0_14KReductionTypeE0EEENS0_15BLayout_TC_int4ILi8ELi32EEES4_Li8ELi8EEEvPKvS8_S8_Pviiiiii.has_recursion, 0
	.set _ZN2at6native30tinygemm_m16n8k16_chunk_kernelINS0_10ALayout_RMILNS0_14KReductionTypeE0EEENS0_15BLayout_TC_int4ILi8ELi32EEES4_Li8ELi8EEEvPKvS8_S8_Pviiiiii.has_indirect_call, 0
	.section	.AMDGPU.csdata,"",@progbits
; Kernel info:
; codeLenInByte = 4752
; TotalNumSgprs: 23
; NumVgprs: 32
; ScratchSize: 0
; MemoryBound: 0
; FloatMode: 240
; IeeeMode: 1
; LDSByteSize: 0 bytes/workgroup (compile time only)
; SGPRBlocks: 2
; VGPRBlocks: 7
; NumSGPRsForWavesPerEU: 23
; NumVGPRsForWavesPerEU: 32
; Occupancy: 8
; WaveLimiterHint : 1
; COMPUTE_PGM_RSRC2:SCRATCH_EN: 0
; COMPUTE_PGM_RSRC2:USER_SGPR: 6
; COMPUTE_PGM_RSRC2:TRAP_HANDLER: 0
; COMPUTE_PGM_RSRC2:TGID_X_EN: 1
; COMPUTE_PGM_RSRC2:TGID_Y_EN: 0
; COMPUTE_PGM_RSRC2:TGID_Z_EN: 0
; COMPUTE_PGM_RSRC2:TIDIG_COMP_CNT: 0
	.section	.text._ZN2at6native30tinygemm_m16n8k16_chunk_kernelINS0_10ALayout_RMILNS0_14KReductionTypeE0EEENS0_15BLayout_TC_int4ILi2ELi64EEES4_Li8ELi8EEEvPKvS8_S8_Pviiiiii,"axG",@progbits,_ZN2at6native30tinygemm_m16n8k16_chunk_kernelINS0_10ALayout_RMILNS0_14KReductionTypeE0EEENS0_15BLayout_TC_int4ILi2ELi64EEES4_Li8ELi8EEEvPKvS8_S8_Pviiiiii,comdat
	.protected	_ZN2at6native30tinygemm_m16n8k16_chunk_kernelINS0_10ALayout_RMILNS0_14KReductionTypeE0EEENS0_15BLayout_TC_int4ILi2ELi64EEES4_Li8ELi8EEEvPKvS8_S8_Pviiiiii ; -- Begin function _ZN2at6native30tinygemm_m16n8k16_chunk_kernelINS0_10ALayout_RMILNS0_14KReductionTypeE0EEENS0_15BLayout_TC_int4ILi2ELi64EEES4_Li8ELi8EEEvPKvS8_S8_Pviiiiii
	.globl	_ZN2at6native30tinygemm_m16n8k16_chunk_kernelINS0_10ALayout_RMILNS0_14KReductionTypeE0EEENS0_15BLayout_TC_int4ILi2ELi64EEES4_Li8ELi8EEEvPKvS8_S8_Pviiiiii
	.p2align	8
	.type	_ZN2at6native30tinygemm_m16n8k16_chunk_kernelINS0_10ALayout_RMILNS0_14KReductionTypeE0EEENS0_15BLayout_TC_int4ILi2ELi64EEES4_Li8ELi8EEEvPKvS8_S8_Pviiiiii,@function
_ZN2at6native30tinygemm_m16n8k16_chunk_kernelINS0_10ALayout_RMILNS0_14KReductionTypeE0EEENS0_15BLayout_TC_int4ILi2ELi64EEES4_Li8ELi8EEEvPKvS8_S8_Pviiiiii: ; @_ZN2at6native30tinygemm_m16n8k16_chunk_kernelINS0_10ALayout_RMILNS0_14KReductionTypeE0EEENS0_15BLayout_TC_int4ILi2ELi64EEES4_Li8ELi8EEEvPKvS8_S8_Pviiiiii
; %bb.0:
	s_load_dwordx2 s[2:3], s[4:5], 0x88
	v_mbcnt_lo_u32_b32 v0, -1, 0
	v_mbcnt_hi_u32_b32 v30, -1, v0
	v_readfirstlane_b32 s0, v30
	v_mov_b32_e32 v5, 0
	v_mov_b32_e32 v6, 0
	v_cmp_eq_u32_e64 s[0:1], s0, v30
	s_and_saveexec_b64 s[4:5], s[0:1]
	s_cbranch_execz .LBB3_6
; %bb.1:
	v_mov_b32_e32 v0, 0
	s_waitcnt lgkmcnt(0)
	global_load_dwordx2 v[3:4], v0, s[2:3] offset:24 glc
	s_waitcnt vmcnt(0)
	buffer_wbinvl1_vol
	global_load_dwordx2 v[1:2], v0, s[2:3] offset:40
	global_load_dwordx2 v[5:6], v0, s[2:3]
	s_waitcnt vmcnt(1)
	v_and_b32_e32 v1, v1, v3
	v_and_b32_e32 v2, v2, v4
	v_mul_lo_u32 v2, v2, 24
	v_mul_hi_u32 v7, v1, 24
	v_mul_lo_u32 v1, v1, 24
	v_add_u32_e32 v2, v7, v2
	s_waitcnt vmcnt(0)
	v_add_co_u32_e32 v1, vcc, v5, v1
	v_addc_co_u32_e32 v2, vcc, v6, v2, vcc
	global_load_dwordx2 v[1:2], v[1:2], off glc
	s_waitcnt vmcnt(0)
	global_atomic_cmpswap_x2 v[5:6], v0, v[1:4], s[2:3] offset:24 glc
	s_waitcnt vmcnt(0)
	buffer_wbinvl1_vol
	v_cmp_ne_u64_e32 vcc, v[5:6], v[3:4]
	s_and_saveexec_b64 s[6:7], vcc
	s_cbranch_execz .LBB3_5
; %bb.2:
	s_mov_b64 s[8:9], 0
.LBB3_3:                                ; =>This Inner Loop Header: Depth=1
	s_sleep 1
	global_load_dwordx2 v[1:2], v0, s[2:3] offset:40
	global_load_dwordx2 v[7:8], v0, s[2:3]
	v_mov_b32_e32 v3, v5
	v_mov_b32_e32 v4, v6
	s_waitcnt vmcnt(1)
	v_and_b32_e32 v1, v1, v3
	s_waitcnt vmcnt(0)
	v_mad_u64_u32 v[5:6], s[10:11], v1, 24, v[7:8]
	v_and_b32_e32 v2, v2, v4
	v_mov_b32_e32 v1, v6
	v_mad_u64_u32 v[1:2], s[10:11], v2, 24, v[1:2]
	v_mov_b32_e32 v6, v1
	global_load_dwordx2 v[1:2], v[5:6], off glc
	s_waitcnt vmcnt(0)
	global_atomic_cmpswap_x2 v[5:6], v0, v[1:4], s[2:3] offset:24 glc
	s_waitcnt vmcnt(0)
	buffer_wbinvl1_vol
	v_cmp_eq_u64_e32 vcc, v[5:6], v[3:4]
	s_or_b64 s[8:9], vcc, s[8:9]
	s_andn2_b64 exec, exec, s[8:9]
	s_cbranch_execnz .LBB3_3
; %bb.4:
	s_or_b64 exec, exec, s[8:9]
.LBB3_5:
	s_or_b64 exec, exec, s[6:7]
.LBB3_6:
	s_or_b64 exec, exec, s[4:5]
	v_mov_b32_e32 v4, 0
	s_waitcnt lgkmcnt(0)
	global_load_dwordx2 v[7:8], v4, s[2:3] offset:40
	global_load_dwordx4 v[0:3], v4, s[2:3]
	v_readfirstlane_b32 s5, v6
	v_readfirstlane_b32 s4, v5
	s_mov_b64 s[6:7], exec
	s_waitcnt vmcnt(1)
	v_readfirstlane_b32 s8, v7
	v_readfirstlane_b32 s9, v8
	s_and_b64 s[8:9], s[8:9], s[4:5]
	s_mul_i32 s10, s9, 24
	s_mul_hi_u32 s11, s8, 24
	s_mul_i32 s12, s8, 24
	s_add_i32 s10, s11, s10
	v_mov_b32_e32 v5, s10
	s_waitcnt vmcnt(0)
	v_add_co_u32_e32 v7, vcc, s12, v0
	v_addc_co_u32_e32 v8, vcc, v1, v5, vcc
	s_and_saveexec_b64 s[10:11], s[0:1]
	s_cbranch_execz .LBB3_8
; %bb.7:
	v_mov_b32_e32 v10, s7
	v_mov_b32_e32 v9, s6
	;; [unrolled: 1-line block ×4, first 2 shown]
	global_store_dwordx4 v[7:8], v[9:12], off offset:8
.LBB3_8:
	s_or_b64 exec, exec, s[10:11]
	s_lshl_b64 s[6:7], s[8:9], 12
	v_mov_b32_e32 v5, s7
	v_add_co_u32_e32 v2, vcc, s6, v2
	v_addc_co_u32_e32 v11, vcc, v3, v5, vcc
	v_lshlrev_b32_e32 v29, 6, v30
	s_mov_b32 s8, 0
	v_mov_b32_e32 v3, 33
	v_mov_b32_e32 v5, v4
	v_mov_b32_e32 v6, v4
	v_readfirstlane_b32 s6, v2
	v_readfirstlane_b32 s7, v11
	v_add_co_u32_e32 v9, vcc, v2, v29
	s_mov_b32 s9, s8
	s_mov_b32 s10, s8
	s_mov_b32 s11, s8
	s_nop 0
	global_store_dwordx4 v29, v[3:6], s[6:7]
	v_mov_b32_e32 v2, s8
	v_addc_co_u32_e32 v10, vcc, 0, v11, vcc
	v_mov_b32_e32 v3, s9
	v_mov_b32_e32 v4, s10
	;; [unrolled: 1-line block ×3, first 2 shown]
	global_store_dwordx4 v29, v[2:5], s[6:7] offset:16
	global_store_dwordx4 v29, v[2:5], s[6:7] offset:32
	;; [unrolled: 1-line block ×3, first 2 shown]
	s_and_saveexec_b64 s[6:7], s[0:1]
	s_cbranch_execz .LBB3_16
; %bb.9:
	v_mov_b32_e32 v6, 0
	global_load_dwordx2 v[13:14], v6, s[2:3] offset:32 glc
	global_load_dwordx2 v[2:3], v6, s[2:3] offset:40
	v_mov_b32_e32 v11, s4
	v_mov_b32_e32 v12, s5
	s_waitcnt vmcnt(0)
	v_and_b32_e32 v2, s4, v2
	v_and_b32_e32 v3, s5, v3
	v_mul_lo_u32 v3, v3, 24
	v_mul_hi_u32 v4, v2, 24
	v_mul_lo_u32 v2, v2, 24
	v_add_u32_e32 v3, v4, v3
	v_add_co_u32_e32 v4, vcc, v0, v2
	v_addc_co_u32_e32 v5, vcc, v1, v3, vcc
	global_store_dwordx2 v[4:5], v[13:14], off
	s_waitcnt vmcnt(0)
	global_atomic_cmpswap_x2 v[2:3], v6, v[11:14], s[2:3] offset:32 glc
	s_waitcnt vmcnt(0)
	v_cmp_ne_u64_e32 vcc, v[2:3], v[13:14]
	s_and_saveexec_b64 s[8:9], vcc
	s_cbranch_execz .LBB3_12
; %bb.10:
	s_mov_b64 s[10:11], 0
.LBB3_11:                               ; =>This Inner Loop Header: Depth=1
	s_sleep 1
	global_store_dwordx2 v[4:5], v[2:3], off
	v_mov_b32_e32 v0, s4
	v_mov_b32_e32 v1, s5
	s_waitcnt vmcnt(0)
	global_atomic_cmpswap_x2 v[0:1], v6, v[0:3], s[2:3] offset:32 glc
	s_waitcnt vmcnt(0)
	v_cmp_eq_u64_e32 vcc, v[0:1], v[2:3]
	v_mov_b32_e32 v3, v1
	s_or_b64 s[10:11], vcc, s[10:11]
	v_mov_b32_e32 v2, v0
	s_andn2_b64 exec, exec, s[10:11]
	s_cbranch_execnz .LBB3_11
.LBB3_12:
	s_or_b64 exec, exec, s[8:9]
	v_mov_b32_e32 v3, 0
	global_load_dwordx2 v[0:1], v3, s[2:3] offset:16
	s_mov_b64 s[8:9], exec
	v_mbcnt_lo_u32_b32 v2, s8, 0
	v_mbcnt_hi_u32_b32 v2, s9, v2
	v_cmp_eq_u32_e32 vcc, 0, v2
	s_and_saveexec_b64 s[10:11], vcc
	s_cbranch_execz .LBB3_14
; %bb.13:
	s_bcnt1_i32_b64 s8, s[8:9]
	v_mov_b32_e32 v2, s8
	s_waitcnt vmcnt(0)
	global_atomic_add_x2 v[0:1], v[2:3], off offset:8
.LBB3_14:
	s_or_b64 exec, exec, s[10:11]
	s_waitcnt vmcnt(0)
	global_load_dwordx2 v[2:3], v[0:1], off offset:16
	s_waitcnt vmcnt(0)
	v_cmp_eq_u64_e32 vcc, 0, v[2:3]
	s_cbranch_vccnz .LBB3_16
; %bb.15:
	global_load_dword v0, v[0:1], off offset:24
	v_mov_b32_e32 v1, 0
	s_waitcnt vmcnt(0)
	v_readfirstlane_b32 s8, v0
	s_and_b32 m0, s8, 0xffffff
	global_store_dwordx2 v[2:3], v[0:1], off
	s_sendmsg sendmsg(MSG_INTERRUPT)
.LBB3_16:
	s_or_b64 exec, exec, s[6:7]
	s_branch .LBB3_20
.LBB3_17:                               ;   in Loop: Header=BB3_20 Depth=1
	s_or_b64 exec, exec, s[6:7]
	v_readfirstlane_b32 s6, v0
	s_cmp_eq_u32 s6, 0
	s_cbranch_scc1 .LBB3_19
; %bb.18:                               ;   in Loop: Header=BB3_20 Depth=1
	s_sleep 1
	s_cbranch_execnz .LBB3_20
	s_branch .LBB3_22
.LBB3_19:
	s_branch .LBB3_22
.LBB3_20:                               ; =>This Inner Loop Header: Depth=1
	v_mov_b32_e32 v0, 1
	s_and_saveexec_b64 s[6:7], s[0:1]
	s_cbranch_execz .LBB3_17
; %bb.21:                               ;   in Loop: Header=BB3_20 Depth=1
	global_load_dword v0, v[7:8], off offset:20 glc
	s_waitcnt vmcnt(0)
	buffer_wbinvl1_vol
	v_and_b32_e32 v0, 1, v0
	s_branch .LBB3_17
.LBB3_22:
	global_load_dwordx2 v[0:1], v[9:10], off
	s_and_saveexec_b64 s[6:7], s[0:1]
	s_cbranch_execz .LBB3_25
; %bb.23:
	v_mov_b32_e32 v8, 0
	global_load_dwordx2 v[2:3], v8, s[2:3] offset:40
	global_load_dwordx2 v[11:12], v8, s[2:3] offset:24 glc
	global_load_dwordx2 v[4:5], v8, s[2:3]
	s_waitcnt vmcnt(2)
	v_readfirstlane_b32 s8, v2
	v_readfirstlane_b32 s9, v3
	s_add_u32 s10, s8, 1
	s_addc_u32 s11, s9, 0
	s_add_u32 s0, s10, s4
	s_addc_u32 s1, s11, s5
	s_cmp_eq_u64 s[0:1], 0
	s_cselect_b32 s1, s11, s1
	s_cselect_b32 s0, s10, s0
	s_and_b64 s[4:5], s[0:1], s[8:9]
	s_mul_i32 s5, s5, 24
	s_mul_hi_u32 s8, s4, 24
	s_mul_i32 s4, s4, 24
	s_add_i32 s5, s8, s5
	v_mov_b32_e32 v2, s5
	s_waitcnt vmcnt(0)
	v_add_co_u32_e32 v6, vcc, s4, v4
	v_addc_co_u32_e32 v7, vcc, v5, v2, vcc
	v_mov_b32_e32 v9, s0
	global_store_dwordx2 v[6:7], v[11:12], off
	v_mov_b32_e32 v10, s1
	s_waitcnt vmcnt(0)
	global_atomic_cmpswap_x2 v[4:5], v8, v[9:12], s[2:3] offset:24 glc
	s_mov_b64 s[4:5], 0
	s_waitcnt vmcnt(0)
	v_cmp_ne_u64_e32 vcc, v[4:5], v[11:12]
	s_and_b64 exec, exec, vcc
	s_cbranch_execz .LBB3_25
.LBB3_24:                               ; =>This Inner Loop Header: Depth=1
	s_sleep 1
	global_store_dwordx2 v[6:7], v[4:5], off
	v_mov_b32_e32 v2, s0
	v_mov_b32_e32 v3, s1
	s_waitcnt vmcnt(0)
	global_atomic_cmpswap_x2 v[2:3], v8, v[2:5], s[2:3] offset:24 glc
	s_waitcnt vmcnt(0)
	v_cmp_eq_u64_e32 vcc, v[2:3], v[4:5]
	v_mov_b32_e32 v5, v3
	s_or_b64 s[4:5], vcc, s[4:5]
	v_mov_b32_e32 v4, v2
	s_andn2_b64 exec, exec, s[4:5]
	s_cbranch_execnz .LBB3_24
.LBB3_25:
	s_or_b64 exec, exec, s[6:7]
	s_getpc_b64 s[4:5]
	s_add_u32 s4, s4, .str@rel32@lo+4
	s_addc_u32 s5, s5, .str@rel32@hi+12
	s_cmp_lg_u64 s[4:5], 0
	s_cselect_b64 s[0:1], -1, 0
	s_cmp_eq_u64 s[4:5], 0
	s_mov_b64 s[4:5], 0
	s_cbranch_scc1 .LBB3_29
; %bb.26:
	v_mov_b32_e32 v2, 0
	s_getpc_b64 s[4:5]
	s_add_u32 s4, s4, .str@rel32@lo+3
	s_addc_u32 s5, s5, .str@rel32@hi+11
.LBB3_27:                               ; =>This Inner Loop Header: Depth=1
	global_load_ubyte v3, v2, s[4:5] offset:1
	s_add_u32 s6, s4, 1
	s_addc_u32 s7, s5, 0
	s_mov_b64 s[4:5], s[6:7]
	s_waitcnt vmcnt(0)
	v_cmp_ne_u32_e32 vcc, 0, v3
	s_cbranch_vccnz .LBB3_27
; %bb.28:
	s_getpc_b64 s[4:5]
	s_add_u32 s4, s4, .str@rel32@lo+4
	s_addc_u32 s5, s5, .str@rel32@hi+12
	s_sub_u32 s4, s6, s4
	s_subb_u32 s5, s7, s5
	s_add_u32 s4, s4, 1
	s_addc_u32 s5, s5, 0
.LBB3_29:
	s_and_b64 vcc, exec, s[0:1]
	s_cbranch_vccz .LBB3_115
; %bb.30:
	s_waitcnt vmcnt(0)
	v_and_b32_e32 v6, -3, v0
	v_mov_b32_e32 v7, v1
	v_mov_b32_e32 v26, 0
	;; [unrolled: 1-line block ×4, first 2 shown]
	s_getpc_b64 s[6:7]
	s_add_u32 s6, s6, .str@rel32@lo+4
	s_addc_u32 s7, s7, .str@rel32@hi+12
	s_branch .LBB3_32
.LBB3_31:                               ;   in Loop: Header=BB3_32 Depth=1
	s_or_b64 exec, exec, s[12:13]
	s_sub_u32 s4, s4, s8
	s_subb_u32 s5, s5, s9
	s_add_u32 s6, s6, s8
	s_addc_u32 s7, s7, s9
	s_cmp_lg_u64 s[4:5], 0
	s_cbranch_scc0 .LBB3_114
.LBB3_32:                               ; =>This Loop Header: Depth=1
                                        ;     Child Loop BB3_35 Depth 2
                                        ;     Child Loop BB3_43 Depth 2
	;; [unrolled: 1-line block ×11, first 2 shown]
	v_cmp_lt_u64_e64 s[0:1], s[4:5], 56
	v_cmp_gt_u64_e64 s[10:11], s[4:5], 7
	s_and_b64 s[0:1], s[0:1], exec
	s_cselect_b32 s9, s5, 0
	s_cselect_b32 s8, s4, 56
	s_add_u32 s0, s6, 8
	s_addc_u32 s1, s7, 0
	s_and_b64 vcc, exec, s[10:11]
	s_cbranch_vccnz .LBB3_36
; %bb.33:                               ;   in Loop: Header=BB3_32 Depth=1
	s_cmp_eq_u64 s[4:5], 0
	s_cbranch_scc1 .LBB3_37
; %bb.34:                               ;   in Loop: Header=BB3_32 Depth=1
	s_waitcnt vmcnt(0)
	v_mov_b32_e32 v8, 0
	s_lshl_b64 s[0:1], s[8:9], 3
	s_mov_b64 s[10:11], 0
	v_mov_b32_e32 v9, 0
	s_mov_b64 s[12:13], s[6:7]
.LBB3_35:                               ;   Parent Loop BB3_32 Depth=1
                                        ; =>  This Inner Loop Header: Depth=2
	global_load_ubyte v2, v26, s[12:13]
	s_waitcnt vmcnt(0)
	v_and_b32_e32 v25, 0xffff, v2
	v_lshlrev_b64 v[2:3], s10, v[25:26]
	s_add_u32 s10, s10, 8
	s_addc_u32 s11, s11, 0
	s_add_u32 s12, s12, 1
	s_addc_u32 s13, s13, 0
	v_or_b32_e32 v8, v2, v8
	s_cmp_lg_u32 s0, s10
	v_or_b32_e32 v9, v3, v9
	s_cbranch_scc1 .LBB3_35
	s_branch .LBB3_38
.LBB3_36:                               ;   in Loop: Header=BB3_32 Depth=1
	s_mov_b32 s14, 0
	s_branch .LBB3_39
.LBB3_37:                               ;   in Loop: Header=BB3_32 Depth=1
	s_waitcnt vmcnt(0)
	v_mov_b32_e32 v8, 0
	v_mov_b32_e32 v9, 0
.LBB3_38:                               ;   in Loop: Header=BB3_32 Depth=1
	s_mov_b64 s[0:1], s[6:7]
	s_mov_b32 s14, 0
	s_cbranch_execnz .LBB3_40
.LBB3_39:                               ;   in Loop: Header=BB3_32 Depth=1
	global_load_dwordx2 v[8:9], v26, s[6:7]
	s_add_i32 s14, s8, -8
.LBB3_40:                               ;   in Loop: Header=BB3_32 Depth=1
	s_add_u32 s10, s0, 8
	s_addc_u32 s11, s1, 0
	s_cmp_gt_u32 s14, 7
	s_cbranch_scc1 .LBB3_44
; %bb.41:                               ;   in Loop: Header=BB3_32 Depth=1
	s_cmp_eq_u32 s14, 0
	s_cbranch_scc1 .LBB3_45
; %bb.42:                               ;   in Loop: Header=BB3_32 Depth=1
	v_mov_b32_e32 v10, 0
	s_mov_b64 s[10:11], 0
	v_mov_b32_e32 v11, 0
	s_mov_b64 s[12:13], 0
.LBB3_43:                               ;   Parent Loop BB3_32 Depth=1
                                        ; =>  This Inner Loop Header: Depth=2
	s_add_u32 s16, s0, s12
	s_addc_u32 s17, s1, s13
	global_load_ubyte v2, v26, s[16:17]
	s_add_u32 s12, s12, 1
	s_addc_u32 s13, s13, 0
	s_waitcnt vmcnt(0)
	v_and_b32_e32 v25, 0xffff, v2
	v_lshlrev_b64 v[2:3], s10, v[25:26]
	s_add_u32 s10, s10, 8
	s_addc_u32 s11, s11, 0
	v_or_b32_e32 v10, v2, v10
	s_cmp_lg_u32 s14, s12
	v_or_b32_e32 v11, v3, v11
	s_cbranch_scc1 .LBB3_43
	s_branch .LBB3_46
.LBB3_44:                               ;   in Loop: Header=BB3_32 Depth=1
                                        ; implicit-def: $vgpr10_vgpr11
	s_mov_b32 s15, 0
	s_branch .LBB3_47
.LBB3_45:                               ;   in Loop: Header=BB3_32 Depth=1
	v_mov_b32_e32 v10, 0
	v_mov_b32_e32 v11, 0
.LBB3_46:                               ;   in Loop: Header=BB3_32 Depth=1
	s_mov_b64 s[10:11], s[0:1]
	s_mov_b32 s15, 0
	s_cbranch_execnz .LBB3_48
.LBB3_47:                               ;   in Loop: Header=BB3_32 Depth=1
	global_load_dwordx2 v[10:11], v26, s[0:1]
	s_add_i32 s15, s14, -8
.LBB3_48:                               ;   in Loop: Header=BB3_32 Depth=1
	s_add_u32 s0, s10, 8
	s_addc_u32 s1, s11, 0
	s_cmp_gt_u32 s15, 7
	s_cbranch_scc1 .LBB3_52
; %bb.49:                               ;   in Loop: Header=BB3_32 Depth=1
	s_cmp_eq_u32 s15, 0
	s_cbranch_scc1 .LBB3_53
; %bb.50:                               ;   in Loop: Header=BB3_32 Depth=1
	v_mov_b32_e32 v12, 0
	s_mov_b64 s[0:1], 0
	v_mov_b32_e32 v13, 0
	s_mov_b64 s[12:13], 0
.LBB3_51:                               ;   Parent Loop BB3_32 Depth=1
                                        ; =>  This Inner Loop Header: Depth=2
	s_add_u32 s16, s10, s12
	s_addc_u32 s17, s11, s13
	global_load_ubyte v2, v26, s[16:17]
	s_add_u32 s12, s12, 1
	s_addc_u32 s13, s13, 0
	s_waitcnt vmcnt(0)
	v_and_b32_e32 v25, 0xffff, v2
	v_lshlrev_b64 v[2:3], s0, v[25:26]
	s_add_u32 s0, s0, 8
	s_addc_u32 s1, s1, 0
	v_or_b32_e32 v12, v2, v12
	s_cmp_lg_u32 s15, s12
	v_or_b32_e32 v13, v3, v13
	s_cbranch_scc1 .LBB3_51
	s_branch .LBB3_54
.LBB3_52:                               ;   in Loop: Header=BB3_32 Depth=1
	s_mov_b32 s14, 0
	s_branch .LBB3_55
.LBB3_53:                               ;   in Loop: Header=BB3_32 Depth=1
	v_mov_b32_e32 v12, 0
	v_mov_b32_e32 v13, 0
.LBB3_54:                               ;   in Loop: Header=BB3_32 Depth=1
	s_mov_b64 s[0:1], s[10:11]
	s_mov_b32 s14, 0
	s_cbranch_execnz .LBB3_56
.LBB3_55:                               ;   in Loop: Header=BB3_32 Depth=1
	global_load_dwordx2 v[12:13], v26, s[10:11]
	s_add_i32 s14, s15, -8
.LBB3_56:                               ;   in Loop: Header=BB3_32 Depth=1
	s_add_u32 s10, s0, 8
	s_addc_u32 s11, s1, 0
	s_cmp_gt_u32 s14, 7
	s_cbranch_scc1 .LBB3_60
; %bb.57:                               ;   in Loop: Header=BB3_32 Depth=1
	s_cmp_eq_u32 s14, 0
	s_cbranch_scc1 .LBB3_61
; %bb.58:                               ;   in Loop: Header=BB3_32 Depth=1
	v_mov_b32_e32 v14, 0
	s_mov_b64 s[10:11], 0
	v_mov_b32_e32 v15, 0
	s_mov_b64 s[12:13], 0
.LBB3_59:                               ;   Parent Loop BB3_32 Depth=1
                                        ; =>  This Inner Loop Header: Depth=2
	s_add_u32 s16, s0, s12
	s_addc_u32 s17, s1, s13
	global_load_ubyte v2, v26, s[16:17]
	s_add_u32 s12, s12, 1
	s_addc_u32 s13, s13, 0
	s_waitcnt vmcnt(0)
	v_and_b32_e32 v25, 0xffff, v2
	v_lshlrev_b64 v[2:3], s10, v[25:26]
	s_add_u32 s10, s10, 8
	s_addc_u32 s11, s11, 0
	v_or_b32_e32 v14, v2, v14
	s_cmp_lg_u32 s14, s12
	v_or_b32_e32 v15, v3, v15
	s_cbranch_scc1 .LBB3_59
	s_branch .LBB3_62
.LBB3_60:                               ;   in Loop: Header=BB3_32 Depth=1
                                        ; implicit-def: $vgpr14_vgpr15
	s_mov_b32 s15, 0
	s_branch .LBB3_63
.LBB3_61:                               ;   in Loop: Header=BB3_32 Depth=1
	v_mov_b32_e32 v14, 0
	v_mov_b32_e32 v15, 0
.LBB3_62:                               ;   in Loop: Header=BB3_32 Depth=1
	s_mov_b64 s[10:11], s[0:1]
	s_mov_b32 s15, 0
	s_cbranch_execnz .LBB3_64
.LBB3_63:                               ;   in Loop: Header=BB3_32 Depth=1
	global_load_dwordx2 v[14:15], v26, s[0:1]
	s_add_i32 s15, s14, -8
.LBB3_64:                               ;   in Loop: Header=BB3_32 Depth=1
	s_add_u32 s0, s10, 8
	s_addc_u32 s1, s11, 0
	s_cmp_gt_u32 s15, 7
	s_cbranch_scc1 .LBB3_68
; %bb.65:                               ;   in Loop: Header=BB3_32 Depth=1
	s_cmp_eq_u32 s15, 0
	s_cbranch_scc1 .LBB3_69
; %bb.66:                               ;   in Loop: Header=BB3_32 Depth=1
	v_mov_b32_e32 v16, 0
	s_mov_b64 s[0:1], 0
	v_mov_b32_e32 v17, 0
	s_mov_b64 s[12:13], 0
.LBB3_67:                               ;   Parent Loop BB3_32 Depth=1
                                        ; =>  This Inner Loop Header: Depth=2
	s_add_u32 s16, s10, s12
	s_addc_u32 s17, s11, s13
	global_load_ubyte v2, v26, s[16:17]
	s_add_u32 s12, s12, 1
	s_addc_u32 s13, s13, 0
	s_waitcnt vmcnt(0)
	v_and_b32_e32 v25, 0xffff, v2
	v_lshlrev_b64 v[2:3], s0, v[25:26]
	s_add_u32 s0, s0, 8
	s_addc_u32 s1, s1, 0
	v_or_b32_e32 v16, v2, v16
	s_cmp_lg_u32 s15, s12
	v_or_b32_e32 v17, v3, v17
	s_cbranch_scc1 .LBB3_67
	s_branch .LBB3_70
.LBB3_68:                               ;   in Loop: Header=BB3_32 Depth=1
	s_mov_b32 s14, 0
	s_branch .LBB3_71
.LBB3_69:                               ;   in Loop: Header=BB3_32 Depth=1
	v_mov_b32_e32 v16, 0
	v_mov_b32_e32 v17, 0
.LBB3_70:                               ;   in Loop: Header=BB3_32 Depth=1
	s_mov_b64 s[0:1], s[10:11]
	s_mov_b32 s14, 0
	s_cbranch_execnz .LBB3_72
.LBB3_71:                               ;   in Loop: Header=BB3_32 Depth=1
	global_load_dwordx2 v[16:17], v26, s[10:11]
	s_add_i32 s14, s15, -8
.LBB3_72:                               ;   in Loop: Header=BB3_32 Depth=1
	s_add_u32 s10, s0, 8
	s_addc_u32 s11, s1, 0
	s_cmp_gt_u32 s14, 7
	s_cbranch_scc1 .LBB3_76
; %bb.73:                               ;   in Loop: Header=BB3_32 Depth=1
	s_cmp_eq_u32 s14, 0
	s_cbranch_scc1 .LBB3_77
; %bb.74:                               ;   in Loop: Header=BB3_32 Depth=1
	v_mov_b32_e32 v18, 0
	s_mov_b64 s[10:11], 0
	v_mov_b32_e32 v19, 0
	s_mov_b64 s[12:13], 0
.LBB3_75:                               ;   Parent Loop BB3_32 Depth=1
                                        ; =>  This Inner Loop Header: Depth=2
	s_add_u32 s16, s0, s12
	s_addc_u32 s17, s1, s13
	global_load_ubyte v2, v26, s[16:17]
	s_add_u32 s12, s12, 1
	s_addc_u32 s13, s13, 0
	s_waitcnt vmcnt(0)
	v_and_b32_e32 v25, 0xffff, v2
	v_lshlrev_b64 v[2:3], s10, v[25:26]
	s_add_u32 s10, s10, 8
	s_addc_u32 s11, s11, 0
	v_or_b32_e32 v18, v2, v18
	s_cmp_lg_u32 s14, s12
	v_or_b32_e32 v19, v3, v19
	s_cbranch_scc1 .LBB3_75
	s_branch .LBB3_78
.LBB3_76:                               ;   in Loop: Header=BB3_32 Depth=1
                                        ; implicit-def: $vgpr18_vgpr19
	s_mov_b32 s15, 0
	s_branch .LBB3_79
.LBB3_77:                               ;   in Loop: Header=BB3_32 Depth=1
	v_mov_b32_e32 v18, 0
	v_mov_b32_e32 v19, 0
.LBB3_78:                               ;   in Loop: Header=BB3_32 Depth=1
	s_mov_b64 s[10:11], s[0:1]
	s_mov_b32 s15, 0
	s_cbranch_execnz .LBB3_80
.LBB3_79:                               ;   in Loop: Header=BB3_32 Depth=1
	global_load_dwordx2 v[18:19], v26, s[0:1]
	s_add_i32 s15, s14, -8
.LBB3_80:                               ;   in Loop: Header=BB3_32 Depth=1
	s_cmp_gt_u32 s15, 7
	s_cbranch_scc1 .LBB3_84
; %bb.81:                               ;   in Loop: Header=BB3_32 Depth=1
	s_cmp_eq_u32 s15, 0
	s_cbranch_scc1 .LBB3_85
; %bb.82:                               ;   in Loop: Header=BB3_32 Depth=1
	v_mov_b32_e32 v20, 0
	s_mov_b64 s[0:1], 0
	v_mov_b32_e32 v21, 0
	s_mov_b64 s[12:13], s[10:11]
.LBB3_83:                               ;   Parent Loop BB3_32 Depth=1
                                        ; =>  This Inner Loop Header: Depth=2
	global_load_ubyte v2, v26, s[12:13]
	s_add_i32 s15, s15, -1
	s_waitcnt vmcnt(0)
	v_and_b32_e32 v25, 0xffff, v2
	v_lshlrev_b64 v[2:3], s0, v[25:26]
	s_add_u32 s0, s0, 8
	s_addc_u32 s1, s1, 0
	s_add_u32 s12, s12, 1
	s_addc_u32 s13, s13, 0
	v_or_b32_e32 v20, v2, v20
	s_cmp_lg_u32 s15, 0
	v_or_b32_e32 v21, v3, v21
	s_cbranch_scc1 .LBB3_83
	s_branch .LBB3_86
.LBB3_84:                               ;   in Loop: Header=BB3_32 Depth=1
	s_branch .LBB3_87
.LBB3_85:                               ;   in Loop: Header=BB3_32 Depth=1
	v_mov_b32_e32 v20, 0
	v_mov_b32_e32 v21, 0
.LBB3_86:                               ;   in Loop: Header=BB3_32 Depth=1
	s_cbranch_execnz .LBB3_88
.LBB3_87:                               ;   in Loop: Header=BB3_32 Depth=1
	global_load_dwordx2 v[20:21], v26, s[10:11]
.LBB3_88:                               ;   in Loop: Header=BB3_32 Depth=1
	v_readfirstlane_b32 s0, v30
	v_mov_b32_e32 v2, 0
	v_mov_b32_e32 v3, 0
	v_cmp_eq_u32_e64 s[0:1], s0, v30
	s_and_saveexec_b64 s[10:11], s[0:1]
	s_cbranch_execz .LBB3_94
; %bb.89:                               ;   in Loop: Header=BB3_32 Depth=1
	global_load_dwordx2 v[24:25], v26, s[2:3] offset:24 glc
	s_waitcnt vmcnt(0)
	buffer_wbinvl1_vol
	global_load_dwordx2 v[2:3], v26, s[2:3] offset:40
	global_load_dwordx2 v[22:23], v26, s[2:3]
	s_waitcnt vmcnt(1)
	v_and_b32_e32 v2, v2, v24
	v_and_b32_e32 v3, v3, v25
	v_mul_lo_u32 v3, v3, 24
	v_mul_hi_u32 v27, v2, 24
	v_mul_lo_u32 v2, v2, 24
	v_add_u32_e32 v3, v27, v3
	s_waitcnt vmcnt(0)
	v_add_co_u32_e32 v2, vcc, v22, v2
	v_addc_co_u32_e32 v3, vcc, v23, v3, vcc
	global_load_dwordx2 v[22:23], v[2:3], off glc
	s_waitcnt vmcnt(0)
	global_atomic_cmpswap_x2 v[2:3], v26, v[22:25], s[2:3] offset:24 glc
	s_waitcnt vmcnt(0)
	buffer_wbinvl1_vol
	v_cmp_ne_u64_e32 vcc, v[2:3], v[24:25]
	s_and_saveexec_b64 s[12:13], vcc
	s_cbranch_execz .LBB3_93
; %bb.90:                               ;   in Loop: Header=BB3_32 Depth=1
	s_mov_b64 s[14:15], 0
.LBB3_91:                               ;   Parent Loop BB3_32 Depth=1
                                        ; =>  This Inner Loop Header: Depth=2
	s_sleep 1
	global_load_dwordx2 v[22:23], v26, s[2:3] offset:40
	global_load_dwordx2 v[27:28], v26, s[2:3]
	v_mov_b32_e32 v25, v3
	v_mov_b32_e32 v24, v2
	s_waitcnt vmcnt(1)
	v_and_b32_e32 v2, v22, v24
	s_waitcnt vmcnt(0)
	v_mad_u64_u32 v[2:3], s[16:17], v2, 24, v[27:28]
	v_and_b32_e32 v22, v23, v25
	v_mad_u64_u32 v[22:23], s[16:17], v22, 24, v[3:4]
	v_mov_b32_e32 v3, v22
	global_load_dwordx2 v[22:23], v[2:3], off glc
	s_waitcnt vmcnt(0)
	global_atomic_cmpswap_x2 v[2:3], v26, v[22:25], s[2:3] offset:24 glc
	s_waitcnt vmcnt(0)
	buffer_wbinvl1_vol
	v_cmp_eq_u64_e32 vcc, v[2:3], v[24:25]
	s_or_b64 s[14:15], vcc, s[14:15]
	s_andn2_b64 exec, exec, s[14:15]
	s_cbranch_execnz .LBB3_91
; %bb.92:                               ;   in Loop: Header=BB3_32 Depth=1
	s_or_b64 exec, exec, s[14:15]
.LBB3_93:                               ;   in Loop: Header=BB3_32 Depth=1
	s_or_b64 exec, exec, s[12:13]
.LBB3_94:                               ;   in Loop: Header=BB3_32 Depth=1
	s_or_b64 exec, exec, s[10:11]
	global_load_dwordx2 v[27:28], v26, s[2:3] offset:40
	global_load_dwordx4 v[22:25], v26, s[2:3]
	v_readfirstlane_b32 s11, v3
	v_readfirstlane_b32 s10, v2
	s_mov_b64 s[12:13], exec
	s_waitcnt vmcnt(1)
	v_readfirstlane_b32 s14, v27
	v_readfirstlane_b32 s15, v28
	s_and_b64 s[14:15], s[14:15], s[10:11]
	s_mul_i32 s16, s15, 24
	s_mul_hi_u32 s17, s14, 24
	s_mul_i32 s18, s14, 24
	s_add_i32 s16, s17, s16
	v_mov_b32_e32 v2, s16
	s_waitcnt vmcnt(0)
	v_add_co_u32_e32 v27, vcc, s18, v22
	v_addc_co_u32_e32 v28, vcc, v23, v2, vcc
	s_and_saveexec_b64 s[16:17], s[0:1]
	s_cbranch_execz .LBB3_96
; %bb.95:                               ;   in Loop: Header=BB3_32 Depth=1
	v_mov_b32_e32 v2, s12
	v_mov_b32_e32 v3, s13
	global_store_dwordx4 v[27:28], v[2:5], off offset:8
.LBB3_96:                               ;   in Loop: Header=BB3_32 Depth=1
	s_or_b64 exec, exec, s[16:17]
	s_lshl_b64 s[12:13], s[14:15], 12
	v_cmp_gt_u64_e64 s[14:15], s[4:5], 56
	v_mov_b32_e32 v2, s13
	v_add_co_u32_e32 v24, vcc, s12, v24
	s_and_b64 s[12:13], s[14:15], exec
	s_cselect_b32 s12, 0, 2
	s_lshl_b32 s13, s8, 2
	v_addc_co_u32_e32 v31, vcc, v25, v2, vcc
	s_add_i32 s13, s13, 28
	v_and_b32_e32 v2, 0xffffff1f, v6
	s_and_b32 s13, s13, 0x1e0
	v_or_b32_e32 v2, s12, v2
	v_or_b32_e32 v6, s13, v2
	v_readfirstlane_b32 s12, v24
	v_readfirstlane_b32 s13, v31
	s_nop 4
	global_store_dwordx4 v29, v[6:9], s[12:13]
	global_store_dwordx4 v29, v[10:13], s[12:13] offset:16
	global_store_dwordx4 v29, v[14:17], s[12:13] offset:32
	global_store_dwordx4 v29, v[18:21], s[12:13] offset:48
	s_and_saveexec_b64 s[12:13], s[0:1]
	s_cbranch_execz .LBB3_104
; %bb.97:                               ;   in Loop: Header=BB3_32 Depth=1
	global_load_dwordx2 v[10:11], v26, s[2:3] offset:32 glc
	global_load_dwordx2 v[2:3], v26, s[2:3] offset:40
	v_mov_b32_e32 v8, s10
	v_mov_b32_e32 v9, s11
	s_waitcnt vmcnt(0)
	v_readfirstlane_b32 s14, v2
	v_readfirstlane_b32 s15, v3
	s_and_b64 s[14:15], s[14:15], s[10:11]
	s_mul_i32 s15, s15, 24
	s_mul_hi_u32 s16, s14, 24
	s_mul_i32 s14, s14, 24
	s_add_i32 s15, s16, s15
	v_mov_b32_e32 v3, s15
	v_add_co_u32_e32 v2, vcc, s14, v22
	v_addc_co_u32_e32 v3, vcc, v23, v3, vcc
	global_store_dwordx2 v[2:3], v[10:11], off
	s_waitcnt vmcnt(0)
	global_atomic_cmpswap_x2 v[8:9], v26, v[8:11], s[2:3] offset:32 glc
	s_waitcnt vmcnt(0)
	v_cmp_ne_u64_e32 vcc, v[8:9], v[10:11]
	s_and_saveexec_b64 s[14:15], vcc
	s_cbranch_execz .LBB3_100
; %bb.98:                               ;   in Loop: Header=BB3_32 Depth=1
	s_mov_b64 s[16:17], 0
.LBB3_99:                               ;   Parent Loop BB3_32 Depth=1
                                        ; =>  This Inner Loop Header: Depth=2
	s_sleep 1
	global_store_dwordx2 v[2:3], v[8:9], off
	v_mov_b32_e32 v6, s10
	v_mov_b32_e32 v7, s11
	s_waitcnt vmcnt(0)
	global_atomic_cmpswap_x2 v[6:7], v26, v[6:9], s[2:3] offset:32 glc
	s_waitcnt vmcnt(0)
	v_cmp_eq_u64_e32 vcc, v[6:7], v[8:9]
	v_mov_b32_e32 v9, v7
	s_or_b64 s[16:17], vcc, s[16:17]
	v_mov_b32_e32 v8, v6
	s_andn2_b64 exec, exec, s[16:17]
	s_cbranch_execnz .LBB3_99
.LBB3_100:                              ;   in Loop: Header=BB3_32 Depth=1
	s_or_b64 exec, exec, s[14:15]
	global_load_dwordx2 v[2:3], v26, s[2:3] offset:16
	s_mov_b64 s[16:17], exec
	v_mbcnt_lo_u32_b32 v6, s16, 0
	v_mbcnt_hi_u32_b32 v6, s17, v6
	v_cmp_eq_u32_e32 vcc, 0, v6
	s_and_saveexec_b64 s[14:15], vcc
	s_cbranch_execz .LBB3_102
; %bb.101:                              ;   in Loop: Header=BB3_32 Depth=1
	s_bcnt1_i32_b64 s16, s[16:17]
	v_mov_b32_e32 v25, s16
	s_waitcnt vmcnt(0)
	global_atomic_add_x2 v[2:3], v[25:26], off offset:8
.LBB3_102:                              ;   in Loop: Header=BB3_32 Depth=1
	s_or_b64 exec, exec, s[14:15]
	s_waitcnt vmcnt(0)
	global_load_dwordx2 v[6:7], v[2:3], off offset:16
	s_waitcnt vmcnt(0)
	v_cmp_eq_u64_e32 vcc, 0, v[6:7]
	s_cbranch_vccnz .LBB3_104
; %bb.103:                              ;   in Loop: Header=BB3_32 Depth=1
	global_load_dword v25, v[2:3], off offset:24
	s_waitcnt vmcnt(0)
	v_readfirstlane_b32 s14, v25
	s_and_b32 m0, s14, 0xffffff
	global_store_dwordx2 v[6:7], v[25:26], off
	s_sendmsg sendmsg(MSG_INTERRUPT)
.LBB3_104:                              ;   in Loop: Header=BB3_32 Depth=1
	s_or_b64 exec, exec, s[12:13]
	v_add_co_u32_e32 v2, vcc, v24, v29
	v_addc_co_u32_e32 v3, vcc, 0, v31, vcc
	s_branch .LBB3_108
.LBB3_105:                              ;   in Loop: Header=BB3_108 Depth=2
	s_or_b64 exec, exec, s[12:13]
	v_readfirstlane_b32 s12, v6
	s_cmp_eq_u32 s12, 0
	s_cbranch_scc1 .LBB3_107
; %bb.106:                              ;   in Loop: Header=BB3_108 Depth=2
	s_sleep 1
	s_cbranch_execnz .LBB3_108
	s_branch .LBB3_110
.LBB3_107:                              ;   in Loop: Header=BB3_32 Depth=1
	s_branch .LBB3_110
.LBB3_108:                              ;   Parent Loop BB3_32 Depth=1
                                        ; =>  This Inner Loop Header: Depth=2
	v_mov_b32_e32 v6, 1
	s_and_saveexec_b64 s[12:13], s[0:1]
	s_cbranch_execz .LBB3_105
; %bb.109:                              ;   in Loop: Header=BB3_108 Depth=2
	global_load_dword v6, v[27:28], off offset:20 glc
	s_waitcnt vmcnt(0)
	buffer_wbinvl1_vol
	v_and_b32_e32 v6, 1, v6
	s_branch .LBB3_105
.LBB3_110:                              ;   in Loop: Header=BB3_32 Depth=1
	global_load_dwordx4 v[6:9], v[2:3], off
	s_and_saveexec_b64 s[12:13], s[0:1]
	s_cbranch_execz .LBB3_31
; %bb.111:                              ;   in Loop: Header=BB3_32 Depth=1
	global_load_dwordx2 v[2:3], v26, s[2:3] offset:40
	global_load_dwordx2 v[12:13], v26, s[2:3] offset:24 glc
	global_load_dwordx2 v[8:9], v26, s[2:3]
	s_waitcnt vmcnt(2)
	v_readfirstlane_b32 s14, v2
	v_readfirstlane_b32 s15, v3
	s_add_u32 s16, s14, 1
	s_addc_u32 s17, s15, 0
	s_add_u32 s0, s16, s10
	s_addc_u32 s1, s17, s11
	s_cmp_eq_u64 s[0:1], 0
	s_cselect_b32 s1, s17, s1
	s_cselect_b32 s0, s16, s0
	s_and_b64 s[10:11], s[0:1], s[14:15]
	s_mul_i32 s11, s11, 24
	s_mul_hi_u32 s14, s10, 24
	s_mul_i32 s10, s10, 24
	s_add_i32 s11, s14, s11
	v_mov_b32_e32 v3, s11
	s_waitcnt vmcnt(0)
	v_add_co_u32_e32 v2, vcc, s10, v8
	v_addc_co_u32_e32 v3, vcc, v9, v3, vcc
	v_mov_b32_e32 v10, s0
	global_store_dwordx2 v[2:3], v[12:13], off
	v_mov_b32_e32 v11, s1
	s_waitcnt vmcnt(0)
	global_atomic_cmpswap_x2 v[10:11], v26, v[10:13], s[2:3] offset:24 glc
	s_waitcnt vmcnt(0)
	v_cmp_ne_u64_e32 vcc, v[10:11], v[12:13]
	s_and_b64 exec, exec, vcc
	s_cbranch_execz .LBB3_31
; %bb.112:                              ;   in Loop: Header=BB3_32 Depth=1
	s_mov_b64 s[10:11], 0
.LBB3_113:                              ;   Parent Loop BB3_32 Depth=1
                                        ; =>  This Inner Loop Header: Depth=2
	s_sleep 1
	global_store_dwordx2 v[2:3], v[10:11], off
	v_mov_b32_e32 v8, s0
	v_mov_b32_e32 v9, s1
	s_waitcnt vmcnt(0)
	global_atomic_cmpswap_x2 v[8:9], v26, v[8:11], s[2:3] offset:24 glc
	s_waitcnt vmcnt(0)
	v_cmp_eq_u64_e32 vcc, v[8:9], v[10:11]
	v_mov_b32_e32 v11, v9
	s_or_b64 s[10:11], vcc, s[10:11]
	v_mov_b32_e32 v10, v8
	s_andn2_b64 exec, exec, s[10:11]
	s_cbranch_execnz .LBB3_113
	s_branch .LBB3_31
.LBB3_114:
	s_branch .LBB3_141
.LBB3_115:
	s_cbranch_execz .LBB3_141
; %bb.116:
	v_readfirstlane_b32 s0, v30
	s_waitcnt vmcnt(0)
	v_mov_b32_e32 v8, 0
	v_mov_b32_e32 v9, 0
	v_cmp_eq_u32_e64 s[0:1], s0, v30
	s_and_saveexec_b64 s[4:5], s[0:1]
	s_cbranch_execz .LBB3_122
; %bb.117:
	v_mov_b32_e32 v2, 0
	global_load_dwordx2 v[5:6], v2, s[2:3] offset:24 glc
	s_waitcnt vmcnt(0)
	buffer_wbinvl1_vol
	global_load_dwordx2 v[3:4], v2, s[2:3] offset:40
	global_load_dwordx2 v[7:8], v2, s[2:3]
	s_waitcnt vmcnt(1)
	v_and_b32_e32 v3, v3, v5
	v_and_b32_e32 v4, v4, v6
	v_mul_lo_u32 v4, v4, 24
	v_mul_hi_u32 v9, v3, 24
	v_mul_lo_u32 v3, v3, 24
	v_add_u32_e32 v4, v9, v4
	s_waitcnt vmcnt(0)
	v_add_co_u32_e32 v3, vcc, v7, v3
	v_addc_co_u32_e32 v4, vcc, v8, v4, vcc
	global_load_dwordx2 v[3:4], v[3:4], off glc
	s_waitcnt vmcnt(0)
	global_atomic_cmpswap_x2 v[8:9], v2, v[3:6], s[2:3] offset:24 glc
	s_waitcnt vmcnt(0)
	buffer_wbinvl1_vol
	v_cmp_ne_u64_e32 vcc, v[8:9], v[5:6]
	s_and_saveexec_b64 s[6:7], vcc
	s_cbranch_execz .LBB3_121
; %bb.118:
	s_mov_b64 s[8:9], 0
.LBB3_119:                              ; =>This Inner Loop Header: Depth=1
	s_sleep 1
	global_load_dwordx2 v[3:4], v2, s[2:3] offset:40
	global_load_dwordx2 v[10:11], v2, s[2:3]
	v_mov_b32_e32 v5, v8
	v_mov_b32_e32 v6, v9
	s_waitcnt vmcnt(1)
	v_and_b32_e32 v3, v3, v5
	s_waitcnt vmcnt(0)
	v_mad_u64_u32 v[7:8], s[10:11], v3, 24, v[10:11]
	v_and_b32_e32 v4, v4, v6
	v_mov_b32_e32 v3, v8
	v_mad_u64_u32 v[3:4], s[10:11], v4, 24, v[3:4]
	v_mov_b32_e32 v8, v3
	global_load_dwordx2 v[3:4], v[7:8], off glc
	s_waitcnt vmcnt(0)
	global_atomic_cmpswap_x2 v[8:9], v2, v[3:6], s[2:3] offset:24 glc
	s_waitcnt vmcnt(0)
	buffer_wbinvl1_vol
	v_cmp_eq_u64_e32 vcc, v[8:9], v[5:6]
	s_or_b64 s[8:9], vcc, s[8:9]
	s_andn2_b64 exec, exec, s[8:9]
	s_cbranch_execnz .LBB3_119
; %bb.120:
	s_or_b64 exec, exec, s[8:9]
.LBB3_121:
	s_or_b64 exec, exec, s[6:7]
.LBB3_122:
	s_or_b64 exec, exec, s[4:5]
	v_mov_b32_e32 v2, 0
	global_load_dwordx2 v[10:11], v2, s[2:3] offset:40
	global_load_dwordx4 v[4:7], v2, s[2:3]
	v_readfirstlane_b32 s5, v9
	v_readfirstlane_b32 s4, v8
	s_mov_b64 s[6:7], exec
	s_waitcnt vmcnt(1)
	v_readfirstlane_b32 s8, v10
	v_readfirstlane_b32 s9, v11
	s_and_b64 s[8:9], s[8:9], s[4:5]
	s_mul_i32 s10, s9, 24
	s_mul_hi_u32 s11, s8, 24
	s_mul_i32 s12, s8, 24
	s_add_i32 s10, s11, s10
	v_mov_b32_e32 v3, s10
	s_waitcnt vmcnt(0)
	v_add_co_u32_e32 v8, vcc, s12, v4
	v_addc_co_u32_e32 v9, vcc, v5, v3, vcc
	s_and_saveexec_b64 s[10:11], s[0:1]
	s_cbranch_execz .LBB3_124
; %bb.123:
	v_mov_b32_e32 v11, s7
	v_mov_b32_e32 v10, s6
	;; [unrolled: 1-line block ×4, first 2 shown]
	global_store_dwordx4 v[8:9], v[10:13], off offset:8
.LBB3_124:
	s_or_b64 exec, exec, s[10:11]
	s_lshl_b64 s[6:7], s[8:9], 12
	v_mov_b32_e32 v3, s7
	v_add_co_u32_e32 v6, vcc, s6, v6
	v_addc_co_u32_e32 v7, vcc, v7, v3, vcc
	s_movk_i32 s6, 0xff1d
	v_and_or_b32 v0, v0, s6, 34
	s_mov_b32 s8, 0
	v_mov_b32_e32 v3, v2
	v_readfirstlane_b32 s6, v6
	v_readfirstlane_b32 s7, v7
	s_mov_b32 s9, s8
	s_mov_b32 s10, s8
	;; [unrolled: 1-line block ×3, first 2 shown]
	s_nop 1
	global_store_dwordx4 v29, v[0:3], s[6:7]
	s_nop 0
	v_mov_b32_e32 v0, s8
	v_mov_b32_e32 v1, s9
	v_mov_b32_e32 v2, s10
	v_mov_b32_e32 v3, s11
	global_store_dwordx4 v29, v[0:3], s[6:7] offset:16
	global_store_dwordx4 v29, v[0:3], s[6:7] offset:32
	;; [unrolled: 1-line block ×3, first 2 shown]
	s_and_saveexec_b64 s[6:7], s[0:1]
	s_cbranch_execz .LBB3_132
; %bb.125:
	v_mov_b32_e32 v6, 0
	global_load_dwordx2 v[12:13], v6, s[2:3] offset:32 glc
	global_load_dwordx2 v[0:1], v6, s[2:3] offset:40
	v_mov_b32_e32 v10, s4
	v_mov_b32_e32 v11, s5
	s_waitcnt vmcnt(0)
	v_readfirstlane_b32 s8, v0
	v_readfirstlane_b32 s9, v1
	s_and_b64 s[8:9], s[8:9], s[4:5]
	s_mul_i32 s9, s9, 24
	s_mul_hi_u32 s10, s8, 24
	s_mul_i32 s8, s8, 24
	s_add_i32 s9, s10, s9
	v_mov_b32_e32 v0, s9
	v_add_co_u32_e32 v4, vcc, s8, v4
	v_addc_co_u32_e32 v5, vcc, v5, v0, vcc
	global_store_dwordx2 v[4:5], v[12:13], off
	s_waitcnt vmcnt(0)
	global_atomic_cmpswap_x2 v[2:3], v6, v[10:13], s[2:3] offset:32 glc
	s_waitcnt vmcnt(0)
	v_cmp_ne_u64_e32 vcc, v[2:3], v[12:13]
	s_and_saveexec_b64 s[8:9], vcc
	s_cbranch_execz .LBB3_128
; %bb.126:
	s_mov_b64 s[10:11], 0
.LBB3_127:                              ; =>This Inner Loop Header: Depth=1
	s_sleep 1
	global_store_dwordx2 v[4:5], v[2:3], off
	v_mov_b32_e32 v0, s4
	v_mov_b32_e32 v1, s5
	s_waitcnt vmcnt(0)
	global_atomic_cmpswap_x2 v[0:1], v6, v[0:3], s[2:3] offset:32 glc
	s_waitcnt vmcnt(0)
	v_cmp_eq_u64_e32 vcc, v[0:1], v[2:3]
	v_mov_b32_e32 v3, v1
	s_or_b64 s[10:11], vcc, s[10:11]
	v_mov_b32_e32 v2, v0
	s_andn2_b64 exec, exec, s[10:11]
	s_cbranch_execnz .LBB3_127
.LBB3_128:
	s_or_b64 exec, exec, s[8:9]
	v_mov_b32_e32 v3, 0
	global_load_dwordx2 v[0:1], v3, s[2:3] offset:16
	s_mov_b64 s[8:9], exec
	v_mbcnt_lo_u32_b32 v2, s8, 0
	v_mbcnt_hi_u32_b32 v2, s9, v2
	v_cmp_eq_u32_e32 vcc, 0, v2
	s_and_saveexec_b64 s[10:11], vcc
	s_cbranch_execz .LBB3_130
; %bb.129:
	s_bcnt1_i32_b64 s8, s[8:9]
	v_mov_b32_e32 v2, s8
	s_waitcnt vmcnt(0)
	global_atomic_add_x2 v[0:1], v[2:3], off offset:8
.LBB3_130:
	s_or_b64 exec, exec, s[10:11]
	s_waitcnt vmcnt(0)
	global_load_dwordx2 v[2:3], v[0:1], off offset:16
	s_waitcnt vmcnt(0)
	v_cmp_eq_u64_e32 vcc, 0, v[2:3]
	s_cbranch_vccnz .LBB3_132
; %bb.131:
	global_load_dword v0, v[0:1], off offset:24
	v_mov_b32_e32 v1, 0
	s_waitcnt vmcnt(0)
	v_readfirstlane_b32 s8, v0
	s_and_b32 m0, s8, 0xffffff
	global_store_dwordx2 v[2:3], v[0:1], off
	s_sendmsg sendmsg(MSG_INTERRUPT)
.LBB3_132:
	s_or_b64 exec, exec, s[6:7]
	s_branch .LBB3_136
.LBB3_133:                              ;   in Loop: Header=BB3_136 Depth=1
	s_or_b64 exec, exec, s[6:7]
	v_readfirstlane_b32 s6, v0
	s_cmp_eq_u32 s6, 0
	s_cbranch_scc1 .LBB3_135
; %bb.134:                              ;   in Loop: Header=BB3_136 Depth=1
	s_sleep 1
	s_cbranch_execnz .LBB3_136
	s_branch .LBB3_138
.LBB3_135:
	s_branch .LBB3_138
.LBB3_136:                              ; =>This Inner Loop Header: Depth=1
	v_mov_b32_e32 v0, 1
	s_and_saveexec_b64 s[6:7], s[0:1]
	s_cbranch_execz .LBB3_133
; %bb.137:                              ;   in Loop: Header=BB3_136 Depth=1
	global_load_dword v0, v[8:9], off offset:20 glc
	s_waitcnt vmcnt(0)
	buffer_wbinvl1_vol
	v_and_b32_e32 v0, 1, v0
	s_branch .LBB3_133
.LBB3_138:
	s_and_saveexec_b64 s[6:7], s[0:1]
	s_cbranch_execz .LBB3_141
; %bb.139:
	v_mov_b32_e32 v6, 0
	global_load_dwordx2 v[0:1], v6, s[2:3] offset:40
	global_load_dwordx2 v[9:10], v6, s[2:3] offset:24 glc
	global_load_dwordx2 v[2:3], v6, s[2:3]
	s_waitcnt vmcnt(2)
	v_readfirstlane_b32 s6, v0
	v_readfirstlane_b32 s7, v1
	s_add_u32 s8, s6, 1
	s_addc_u32 s9, s7, 0
	s_add_u32 s0, s8, s4
	s_addc_u32 s1, s9, s5
	s_cmp_eq_u64 s[0:1], 0
	s_cselect_b32 s1, s9, s1
	s_cselect_b32 s0, s8, s0
	s_and_b64 s[4:5], s[0:1], s[6:7]
	s_mul_i32 s5, s5, 24
	s_mul_hi_u32 s6, s4, 24
	s_mul_i32 s4, s4, 24
	s_add_i32 s5, s6, s5
	v_mov_b32_e32 v0, s5
	s_waitcnt vmcnt(0)
	v_add_co_u32_e32 v4, vcc, s4, v2
	v_addc_co_u32_e32 v5, vcc, v3, v0, vcc
	v_mov_b32_e32 v7, s0
	global_store_dwordx2 v[4:5], v[9:10], off
	v_mov_b32_e32 v8, s1
	s_waitcnt vmcnt(0)
	global_atomic_cmpswap_x2 v[2:3], v6, v[7:10], s[2:3] offset:24 glc
	s_mov_b64 s[4:5], 0
	s_waitcnt vmcnt(0)
	v_cmp_ne_u64_e32 vcc, v[2:3], v[9:10]
	s_and_b64 exec, exec, vcc
	s_cbranch_execz .LBB3_141
.LBB3_140:                              ; =>This Inner Loop Header: Depth=1
	s_sleep 1
	global_store_dwordx2 v[4:5], v[2:3], off
	v_mov_b32_e32 v0, s0
	v_mov_b32_e32 v1, s1
	s_waitcnt vmcnt(0)
	global_atomic_cmpswap_x2 v[0:1], v6, v[0:3], s[2:3] offset:24 glc
	s_waitcnt vmcnt(0)
	v_cmp_eq_u64_e32 vcc, v[0:1], v[2:3]
	v_mov_b32_e32 v3, v1
	s_or_b64 s[4:5], vcc, s[4:5]
	v_mov_b32_e32 v2, v0
	s_andn2_b64 exec, exec, s[4:5]
	s_cbranch_execnz .LBB3_140
.LBB3_141:
	s_endpgm
	.section	.rodata,"a",@progbits
	.p2align	6, 0x0
	.amdhsa_kernel _ZN2at6native30tinygemm_m16n8k16_chunk_kernelINS0_10ALayout_RMILNS0_14KReductionTypeE0EEENS0_15BLayout_TC_int4ILi2ELi64EEES4_Li8ELi8EEEvPKvS8_S8_Pviiiiii
		.amdhsa_group_segment_fixed_size 0
		.amdhsa_private_segment_fixed_size 0
		.amdhsa_kernarg_size 312
		.amdhsa_user_sgpr_count 6
		.amdhsa_user_sgpr_private_segment_buffer 1
		.amdhsa_user_sgpr_dispatch_ptr 0
		.amdhsa_user_sgpr_queue_ptr 0
		.amdhsa_user_sgpr_kernarg_segment_ptr 1
		.amdhsa_user_sgpr_dispatch_id 0
		.amdhsa_user_sgpr_flat_scratch_init 0
		.amdhsa_user_sgpr_private_segment_size 0
		.amdhsa_uses_dynamic_stack 0
		.amdhsa_system_sgpr_private_segment_wavefront_offset 0
		.amdhsa_system_sgpr_workgroup_id_x 1
		.amdhsa_system_sgpr_workgroup_id_y 0
		.amdhsa_system_sgpr_workgroup_id_z 0
		.amdhsa_system_sgpr_workgroup_info 0
		.amdhsa_system_vgpr_workitem_id 0
		.amdhsa_next_free_vgpr 32
		.amdhsa_next_free_sgpr 19
		.amdhsa_reserve_vcc 1
		.amdhsa_reserve_flat_scratch 0
		.amdhsa_float_round_mode_32 0
		.amdhsa_float_round_mode_16_64 0
		.amdhsa_float_denorm_mode_32 3
		.amdhsa_float_denorm_mode_16_64 3
		.amdhsa_dx10_clamp 1
		.amdhsa_ieee_mode 1
		.amdhsa_fp16_overflow 0
		.amdhsa_exception_fp_ieee_invalid_op 0
		.amdhsa_exception_fp_denorm_src 0
		.amdhsa_exception_fp_ieee_div_zero 0
		.amdhsa_exception_fp_ieee_overflow 0
		.amdhsa_exception_fp_ieee_underflow 0
		.amdhsa_exception_fp_ieee_inexact 0
		.amdhsa_exception_int_div_zero 0
	.end_amdhsa_kernel
	.section	.text._ZN2at6native30tinygemm_m16n8k16_chunk_kernelINS0_10ALayout_RMILNS0_14KReductionTypeE0EEENS0_15BLayout_TC_int4ILi2ELi64EEES4_Li8ELi8EEEvPKvS8_S8_Pviiiiii,"axG",@progbits,_ZN2at6native30tinygemm_m16n8k16_chunk_kernelINS0_10ALayout_RMILNS0_14KReductionTypeE0EEENS0_15BLayout_TC_int4ILi2ELi64EEES4_Li8ELi8EEEvPKvS8_S8_Pviiiiii,comdat
.Lfunc_end3:
	.size	_ZN2at6native30tinygemm_m16n8k16_chunk_kernelINS0_10ALayout_RMILNS0_14KReductionTypeE0EEENS0_15BLayout_TC_int4ILi2ELi64EEES4_Li8ELi8EEEvPKvS8_S8_Pviiiiii, .Lfunc_end3-_ZN2at6native30tinygemm_m16n8k16_chunk_kernelINS0_10ALayout_RMILNS0_14KReductionTypeE0EEENS0_15BLayout_TC_int4ILi2ELi64EEES4_Li8ELi8EEEvPKvS8_S8_Pviiiiii
                                        ; -- End function
	.set _ZN2at6native30tinygemm_m16n8k16_chunk_kernelINS0_10ALayout_RMILNS0_14KReductionTypeE0EEENS0_15BLayout_TC_int4ILi2ELi64EEES4_Li8ELi8EEEvPKvS8_S8_Pviiiiii.num_vgpr, 32
	.set _ZN2at6native30tinygemm_m16n8k16_chunk_kernelINS0_10ALayout_RMILNS0_14KReductionTypeE0EEENS0_15BLayout_TC_int4ILi2ELi64EEES4_Li8ELi8EEEvPKvS8_S8_Pviiiiii.num_agpr, 0
	.set _ZN2at6native30tinygemm_m16n8k16_chunk_kernelINS0_10ALayout_RMILNS0_14KReductionTypeE0EEENS0_15BLayout_TC_int4ILi2ELi64EEES4_Li8ELi8EEEvPKvS8_S8_Pviiiiii.numbered_sgpr, 19
	.set _ZN2at6native30tinygemm_m16n8k16_chunk_kernelINS0_10ALayout_RMILNS0_14KReductionTypeE0EEENS0_15BLayout_TC_int4ILi2ELi64EEES4_Li8ELi8EEEvPKvS8_S8_Pviiiiii.num_named_barrier, 0
	.set _ZN2at6native30tinygemm_m16n8k16_chunk_kernelINS0_10ALayout_RMILNS0_14KReductionTypeE0EEENS0_15BLayout_TC_int4ILi2ELi64EEES4_Li8ELi8EEEvPKvS8_S8_Pviiiiii.private_seg_size, 0
	.set _ZN2at6native30tinygemm_m16n8k16_chunk_kernelINS0_10ALayout_RMILNS0_14KReductionTypeE0EEENS0_15BLayout_TC_int4ILi2ELi64EEES4_Li8ELi8EEEvPKvS8_S8_Pviiiiii.uses_vcc, 1
	.set _ZN2at6native30tinygemm_m16n8k16_chunk_kernelINS0_10ALayout_RMILNS0_14KReductionTypeE0EEENS0_15BLayout_TC_int4ILi2ELi64EEES4_Li8ELi8EEEvPKvS8_S8_Pviiiiii.uses_flat_scratch, 0
	.set _ZN2at6native30tinygemm_m16n8k16_chunk_kernelINS0_10ALayout_RMILNS0_14KReductionTypeE0EEENS0_15BLayout_TC_int4ILi2ELi64EEES4_Li8ELi8EEEvPKvS8_S8_Pviiiiii.has_dyn_sized_stack, 0
	.set _ZN2at6native30tinygemm_m16n8k16_chunk_kernelINS0_10ALayout_RMILNS0_14KReductionTypeE0EEENS0_15BLayout_TC_int4ILi2ELi64EEES4_Li8ELi8EEEvPKvS8_S8_Pviiiiii.has_recursion, 0
	.set _ZN2at6native30tinygemm_m16n8k16_chunk_kernelINS0_10ALayout_RMILNS0_14KReductionTypeE0EEENS0_15BLayout_TC_int4ILi2ELi64EEES4_Li8ELi8EEEvPKvS8_S8_Pviiiiii.has_indirect_call, 0
	.section	.AMDGPU.csdata,"",@progbits
; Kernel info:
; codeLenInByte = 4752
; TotalNumSgprs: 23
; NumVgprs: 32
; ScratchSize: 0
; MemoryBound: 0
; FloatMode: 240
; IeeeMode: 1
; LDSByteSize: 0 bytes/workgroup (compile time only)
; SGPRBlocks: 2
; VGPRBlocks: 7
; NumSGPRsForWavesPerEU: 23
; NumVGPRsForWavesPerEU: 32
; Occupancy: 8
; WaveLimiterHint : 1
; COMPUTE_PGM_RSRC2:SCRATCH_EN: 0
; COMPUTE_PGM_RSRC2:USER_SGPR: 6
; COMPUTE_PGM_RSRC2:TRAP_HANDLER: 0
; COMPUTE_PGM_RSRC2:TGID_X_EN: 1
; COMPUTE_PGM_RSRC2:TGID_Y_EN: 0
; COMPUTE_PGM_RSRC2:TGID_Z_EN: 0
; COMPUTE_PGM_RSRC2:TIDIG_COMP_CNT: 0
	.section	.text._ZN2at6native30tinygemm_m16n8k16_chunk_kernelINS0_10ALayout_RMILNS0_14KReductionTypeE0EEENS0_15BLayout_TC_int4ILi4ELi64EEES4_Li8ELi8EEEvPKvS8_S8_Pviiiiii,"axG",@progbits,_ZN2at6native30tinygemm_m16n8k16_chunk_kernelINS0_10ALayout_RMILNS0_14KReductionTypeE0EEENS0_15BLayout_TC_int4ILi4ELi64EEES4_Li8ELi8EEEvPKvS8_S8_Pviiiiii,comdat
	.protected	_ZN2at6native30tinygemm_m16n8k16_chunk_kernelINS0_10ALayout_RMILNS0_14KReductionTypeE0EEENS0_15BLayout_TC_int4ILi4ELi64EEES4_Li8ELi8EEEvPKvS8_S8_Pviiiiii ; -- Begin function _ZN2at6native30tinygemm_m16n8k16_chunk_kernelINS0_10ALayout_RMILNS0_14KReductionTypeE0EEENS0_15BLayout_TC_int4ILi4ELi64EEES4_Li8ELi8EEEvPKvS8_S8_Pviiiiii
	.globl	_ZN2at6native30tinygemm_m16n8k16_chunk_kernelINS0_10ALayout_RMILNS0_14KReductionTypeE0EEENS0_15BLayout_TC_int4ILi4ELi64EEES4_Li8ELi8EEEvPKvS8_S8_Pviiiiii
	.p2align	8
	.type	_ZN2at6native30tinygemm_m16n8k16_chunk_kernelINS0_10ALayout_RMILNS0_14KReductionTypeE0EEENS0_15BLayout_TC_int4ILi4ELi64EEES4_Li8ELi8EEEvPKvS8_S8_Pviiiiii,@function
_ZN2at6native30tinygemm_m16n8k16_chunk_kernelINS0_10ALayout_RMILNS0_14KReductionTypeE0EEENS0_15BLayout_TC_int4ILi4ELi64EEES4_Li8ELi8EEEvPKvS8_S8_Pviiiiii: ; @_ZN2at6native30tinygemm_m16n8k16_chunk_kernelINS0_10ALayout_RMILNS0_14KReductionTypeE0EEENS0_15BLayout_TC_int4ILi4ELi64EEES4_Li8ELi8EEEvPKvS8_S8_Pviiiiii
; %bb.0:
	s_load_dwordx2 s[2:3], s[4:5], 0x88
	v_mbcnt_lo_u32_b32 v0, -1, 0
	v_mbcnt_hi_u32_b32 v30, -1, v0
	v_readfirstlane_b32 s0, v30
	v_mov_b32_e32 v5, 0
	v_mov_b32_e32 v6, 0
	v_cmp_eq_u32_e64 s[0:1], s0, v30
	s_and_saveexec_b64 s[4:5], s[0:1]
	s_cbranch_execz .LBB4_6
; %bb.1:
	v_mov_b32_e32 v0, 0
	s_waitcnt lgkmcnt(0)
	global_load_dwordx2 v[3:4], v0, s[2:3] offset:24 glc
	s_waitcnt vmcnt(0)
	buffer_wbinvl1_vol
	global_load_dwordx2 v[1:2], v0, s[2:3] offset:40
	global_load_dwordx2 v[5:6], v0, s[2:3]
	s_waitcnt vmcnt(1)
	v_and_b32_e32 v1, v1, v3
	v_and_b32_e32 v2, v2, v4
	v_mul_lo_u32 v2, v2, 24
	v_mul_hi_u32 v7, v1, 24
	v_mul_lo_u32 v1, v1, 24
	v_add_u32_e32 v2, v7, v2
	s_waitcnt vmcnt(0)
	v_add_co_u32_e32 v1, vcc, v5, v1
	v_addc_co_u32_e32 v2, vcc, v6, v2, vcc
	global_load_dwordx2 v[1:2], v[1:2], off glc
	s_waitcnt vmcnt(0)
	global_atomic_cmpswap_x2 v[5:6], v0, v[1:4], s[2:3] offset:24 glc
	s_waitcnt vmcnt(0)
	buffer_wbinvl1_vol
	v_cmp_ne_u64_e32 vcc, v[5:6], v[3:4]
	s_and_saveexec_b64 s[6:7], vcc
	s_cbranch_execz .LBB4_5
; %bb.2:
	s_mov_b64 s[8:9], 0
.LBB4_3:                                ; =>This Inner Loop Header: Depth=1
	s_sleep 1
	global_load_dwordx2 v[1:2], v0, s[2:3] offset:40
	global_load_dwordx2 v[7:8], v0, s[2:3]
	v_mov_b32_e32 v3, v5
	v_mov_b32_e32 v4, v6
	s_waitcnt vmcnt(1)
	v_and_b32_e32 v1, v1, v3
	s_waitcnt vmcnt(0)
	v_mad_u64_u32 v[5:6], s[10:11], v1, 24, v[7:8]
	v_and_b32_e32 v2, v2, v4
	v_mov_b32_e32 v1, v6
	v_mad_u64_u32 v[1:2], s[10:11], v2, 24, v[1:2]
	v_mov_b32_e32 v6, v1
	global_load_dwordx2 v[1:2], v[5:6], off glc
	s_waitcnt vmcnt(0)
	global_atomic_cmpswap_x2 v[5:6], v0, v[1:4], s[2:3] offset:24 glc
	s_waitcnt vmcnt(0)
	buffer_wbinvl1_vol
	v_cmp_eq_u64_e32 vcc, v[5:6], v[3:4]
	s_or_b64 s[8:9], vcc, s[8:9]
	s_andn2_b64 exec, exec, s[8:9]
	s_cbranch_execnz .LBB4_3
; %bb.4:
	s_or_b64 exec, exec, s[8:9]
.LBB4_5:
	s_or_b64 exec, exec, s[6:7]
.LBB4_6:
	s_or_b64 exec, exec, s[4:5]
	v_mov_b32_e32 v4, 0
	s_waitcnt lgkmcnt(0)
	global_load_dwordx2 v[7:8], v4, s[2:3] offset:40
	global_load_dwordx4 v[0:3], v4, s[2:3]
	v_readfirstlane_b32 s5, v6
	v_readfirstlane_b32 s4, v5
	s_mov_b64 s[6:7], exec
	s_waitcnt vmcnt(1)
	v_readfirstlane_b32 s8, v7
	v_readfirstlane_b32 s9, v8
	s_and_b64 s[8:9], s[8:9], s[4:5]
	s_mul_i32 s10, s9, 24
	s_mul_hi_u32 s11, s8, 24
	s_mul_i32 s12, s8, 24
	s_add_i32 s10, s11, s10
	v_mov_b32_e32 v5, s10
	s_waitcnt vmcnt(0)
	v_add_co_u32_e32 v7, vcc, s12, v0
	v_addc_co_u32_e32 v8, vcc, v1, v5, vcc
	s_and_saveexec_b64 s[10:11], s[0:1]
	s_cbranch_execz .LBB4_8
; %bb.7:
	v_mov_b32_e32 v10, s7
	v_mov_b32_e32 v9, s6
	;; [unrolled: 1-line block ×4, first 2 shown]
	global_store_dwordx4 v[7:8], v[9:12], off offset:8
.LBB4_8:
	s_or_b64 exec, exec, s[10:11]
	s_lshl_b64 s[6:7], s[8:9], 12
	v_mov_b32_e32 v5, s7
	v_add_co_u32_e32 v2, vcc, s6, v2
	v_addc_co_u32_e32 v11, vcc, v3, v5, vcc
	v_lshlrev_b32_e32 v29, 6, v30
	s_mov_b32 s8, 0
	v_mov_b32_e32 v3, 33
	v_mov_b32_e32 v5, v4
	;; [unrolled: 1-line block ×3, first 2 shown]
	v_readfirstlane_b32 s6, v2
	v_readfirstlane_b32 s7, v11
	v_add_co_u32_e32 v9, vcc, v2, v29
	s_mov_b32 s9, s8
	s_mov_b32 s10, s8
	;; [unrolled: 1-line block ×3, first 2 shown]
	s_nop 0
	global_store_dwordx4 v29, v[3:6], s[6:7]
	v_mov_b32_e32 v2, s8
	v_addc_co_u32_e32 v10, vcc, 0, v11, vcc
	v_mov_b32_e32 v3, s9
	v_mov_b32_e32 v4, s10
	;; [unrolled: 1-line block ×3, first 2 shown]
	global_store_dwordx4 v29, v[2:5], s[6:7] offset:16
	global_store_dwordx4 v29, v[2:5], s[6:7] offset:32
	;; [unrolled: 1-line block ×3, first 2 shown]
	s_and_saveexec_b64 s[6:7], s[0:1]
	s_cbranch_execz .LBB4_16
; %bb.9:
	v_mov_b32_e32 v6, 0
	global_load_dwordx2 v[13:14], v6, s[2:3] offset:32 glc
	global_load_dwordx2 v[2:3], v6, s[2:3] offset:40
	v_mov_b32_e32 v11, s4
	v_mov_b32_e32 v12, s5
	s_waitcnt vmcnt(0)
	v_and_b32_e32 v2, s4, v2
	v_and_b32_e32 v3, s5, v3
	v_mul_lo_u32 v3, v3, 24
	v_mul_hi_u32 v4, v2, 24
	v_mul_lo_u32 v2, v2, 24
	v_add_u32_e32 v3, v4, v3
	v_add_co_u32_e32 v4, vcc, v0, v2
	v_addc_co_u32_e32 v5, vcc, v1, v3, vcc
	global_store_dwordx2 v[4:5], v[13:14], off
	s_waitcnt vmcnt(0)
	global_atomic_cmpswap_x2 v[2:3], v6, v[11:14], s[2:3] offset:32 glc
	s_waitcnt vmcnt(0)
	v_cmp_ne_u64_e32 vcc, v[2:3], v[13:14]
	s_and_saveexec_b64 s[8:9], vcc
	s_cbranch_execz .LBB4_12
; %bb.10:
	s_mov_b64 s[10:11], 0
.LBB4_11:                               ; =>This Inner Loop Header: Depth=1
	s_sleep 1
	global_store_dwordx2 v[4:5], v[2:3], off
	v_mov_b32_e32 v0, s4
	v_mov_b32_e32 v1, s5
	s_waitcnt vmcnt(0)
	global_atomic_cmpswap_x2 v[0:1], v6, v[0:3], s[2:3] offset:32 glc
	s_waitcnt vmcnt(0)
	v_cmp_eq_u64_e32 vcc, v[0:1], v[2:3]
	v_mov_b32_e32 v3, v1
	s_or_b64 s[10:11], vcc, s[10:11]
	v_mov_b32_e32 v2, v0
	s_andn2_b64 exec, exec, s[10:11]
	s_cbranch_execnz .LBB4_11
.LBB4_12:
	s_or_b64 exec, exec, s[8:9]
	v_mov_b32_e32 v3, 0
	global_load_dwordx2 v[0:1], v3, s[2:3] offset:16
	s_mov_b64 s[8:9], exec
	v_mbcnt_lo_u32_b32 v2, s8, 0
	v_mbcnt_hi_u32_b32 v2, s9, v2
	v_cmp_eq_u32_e32 vcc, 0, v2
	s_and_saveexec_b64 s[10:11], vcc
	s_cbranch_execz .LBB4_14
; %bb.13:
	s_bcnt1_i32_b64 s8, s[8:9]
	v_mov_b32_e32 v2, s8
	s_waitcnt vmcnt(0)
	global_atomic_add_x2 v[0:1], v[2:3], off offset:8
.LBB4_14:
	s_or_b64 exec, exec, s[10:11]
	s_waitcnt vmcnt(0)
	global_load_dwordx2 v[2:3], v[0:1], off offset:16
	s_waitcnt vmcnt(0)
	v_cmp_eq_u64_e32 vcc, 0, v[2:3]
	s_cbranch_vccnz .LBB4_16
; %bb.15:
	global_load_dword v0, v[0:1], off offset:24
	v_mov_b32_e32 v1, 0
	s_waitcnt vmcnt(0)
	v_readfirstlane_b32 s8, v0
	s_and_b32 m0, s8, 0xffffff
	global_store_dwordx2 v[2:3], v[0:1], off
	s_sendmsg sendmsg(MSG_INTERRUPT)
.LBB4_16:
	s_or_b64 exec, exec, s[6:7]
	s_branch .LBB4_20
.LBB4_17:                               ;   in Loop: Header=BB4_20 Depth=1
	s_or_b64 exec, exec, s[6:7]
	v_readfirstlane_b32 s6, v0
	s_cmp_eq_u32 s6, 0
	s_cbranch_scc1 .LBB4_19
; %bb.18:                               ;   in Loop: Header=BB4_20 Depth=1
	s_sleep 1
	s_cbranch_execnz .LBB4_20
	s_branch .LBB4_22
.LBB4_19:
	s_branch .LBB4_22
.LBB4_20:                               ; =>This Inner Loop Header: Depth=1
	v_mov_b32_e32 v0, 1
	s_and_saveexec_b64 s[6:7], s[0:1]
	s_cbranch_execz .LBB4_17
; %bb.21:                               ;   in Loop: Header=BB4_20 Depth=1
	global_load_dword v0, v[7:8], off offset:20 glc
	s_waitcnt vmcnt(0)
	buffer_wbinvl1_vol
	v_and_b32_e32 v0, 1, v0
	s_branch .LBB4_17
.LBB4_22:
	global_load_dwordx2 v[0:1], v[9:10], off
	s_and_saveexec_b64 s[6:7], s[0:1]
	s_cbranch_execz .LBB4_25
; %bb.23:
	v_mov_b32_e32 v8, 0
	global_load_dwordx2 v[2:3], v8, s[2:3] offset:40
	global_load_dwordx2 v[11:12], v8, s[2:3] offset:24 glc
	global_load_dwordx2 v[4:5], v8, s[2:3]
	s_waitcnt vmcnt(2)
	v_readfirstlane_b32 s8, v2
	v_readfirstlane_b32 s9, v3
	s_add_u32 s10, s8, 1
	s_addc_u32 s11, s9, 0
	s_add_u32 s0, s10, s4
	s_addc_u32 s1, s11, s5
	s_cmp_eq_u64 s[0:1], 0
	s_cselect_b32 s1, s11, s1
	s_cselect_b32 s0, s10, s0
	s_and_b64 s[4:5], s[0:1], s[8:9]
	s_mul_i32 s5, s5, 24
	s_mul_hi_u32 s8, s4, 24
	s_mul_i32 s4, s4, 24
	s_add_i32 s5, s8, s5
	v_mov_b32_e32 v2, s5
	s_waitcnt vmcnt(0)
	v_add_co_u32_e32 v6, vcc, s4, v4
	v_addc_co_u32_e32 v7, vcc, v5, v2, vcc
	v_mov_b32_e32 v9, s0
	global_store_dwordx2 v[6:7], v[11:12], off
	v_mov_b32_e32 v10, s1
	s_waitcnt vmcnt(0)
	global_atomic_cmpswap_x2 v[4:5], v8, v[9:12], s[2:3] offset:24 glc
	s_mov_b64 s[4:5], 0
	s_waitcnt vmcnt(0)
	v_cmp_ne_u64_e32 vcc, v[4:5], v[11:12]
	s_and_b64 exec, exec, vcc
	s_cbranch_execz .LBB4_25
.LBB4_24:                               ; =>This Inner Loop Header: Depth=1
	s_sleep 1
	global_store_dwordx2 v[6:7], v[4:5], off
	v_mov_b32_e32 v2, s0
	v_mov_b32_e32 v3, s1
	s_waitcnt vmcnt(0)
	global_atomic_cmpswap_x2 v[2:3], v8, v[2:5], s[2:3] offset:24 glc
	s_waitcnt vmcnt(0)
	v_cmp_eq_u64_e32 vcc, v[2:3], v[4:5]
	v_mov_b32_e32 v5, v3
	s_or_b64 s[4:5], vcc, s[4:5]
	v_mov_b32_e32 v4, v2
	s_andn2_b64 exec, exec, s[4:5]
	s_cbranch_execnz .LBB4_24
.LBB4_25:
	s_or_b64 exec, exec, s[6:7]
	s_getpc_b64 s[4:5]
	s_add_u32 s4, s4, .str@rel32@lo+4
	s_addc_u32 s5, s5, .str@rel32@hi+12
	s_cmp_lg_u64 s[4:5], 0
	s_cselect_b64 s[0:1], -1, 0
	s_cmp_eq_u64 s[4:5], 0
	s_mov_b64 s[4:5], 0
	s_cbranch_scc1 .LBB4_29
; %bb.26:
	v_mov_b32_e32 v2, 0
	s_getpc_b64 s[4:5]
	s_add_u32 s4, s4, .str@rel32@lo+3
	s_addc_u32 s5, s5, .str@rel32@hi+11
.LBB4_27:                               ; =>This Inner Loop Header: Depth=1
	global_load_ubyte v3, v2, s[4:5] offset:1
	s_add_u32 s6, s4, 1
	s_addc_u32 s7, s5, 0
	s_mov_b64 s[4:5], s[6:7]
	s_waitcnt vmcnt(0)
	v_cmp_ne_u32_e32 vcc, 0, v3
	s_cbranch_vccnz .LBB4_27
; %bb.28:
	s_getpc_b64 s[4:5]
	s_add_u32 s4, s4, .str@rel32@lo+4
	s_addc_u32 s5, s5, .str@rel32@hi+12
	s_sub_u32 s4, s6, s4
	s_subb_u32 s5, s7, s5
	s_add_u32 s4, s4, 1
	s_addc_u32 s5, s5, 0
.LBB4_29:
	s_and_b64 vcc, exec, s[0:1]
	s_cbranch_vccz .LBB4_115
; %bb.30:
	s_waitcnt vmcnt(0)
	v_and_b32_e32 v6, -3, v0
	v_mov_b32_e32 v7, v1
	v_mov_b32_e32 v26, 0
	;; [unrolled: 1-line block ×4, first 2 shown]
	s_getpc_b64 s[6:7]
	s_add_u32 s6, s6, .str@rel32@lo+4
	s_addc_u32 s7, s7, .str@rel32@hi+12
	s_branch .LBB4_32
.LBB4_31:                               ;   in Loop: Header=BB4_32 Depth=1
	s_or_b64 exec, exec, s[12:13]
	s_sub_u32 s4, s4, s8
	s_subb_u32 s5, s5, s9
	s_add_u32 s6, s6, s8
	s_addc_u32 s7, s7, s9
	s_cmp_lg_u64 s[4:5], 0
	s_cbranch_scc0 .LBB4_114
.LBB4_32:                               ; =>This Loop Header: Depth=1
                                        ;     Child Loop BB4_35 Depth 2
                                        ;     Child Loop BB4_43 Depth 2
	;; [unrolled: 1-line block ×11, first 2 shown]
	v_cmp_lt_u64_e64 s[0:1], s[4:5], 56
	v_cmp_gt_u64_e64 s[10:11], s[4:5], 7
	s_and_b64 s[0:1], s[0:1], exec
	s_cselect_b32 s9, s5, 0
	s_cselect_b32 s8, s4, 56
	s_add_u32 s0, s6, 8
	s_addc_u32 s1, s7, 0
	s_and_b64 vcc, exec, s[10:11]
	s_cbranch_vccnz .LBB4_36
; %bb.33:                               ;   in Loop: Header=BB4_32 Depth=1
	s_cmp_eq_u64 s[4:5], 0
	s_cbranch_scc1 .LBB4_37
; %bb.34:                               ;   in Loop: Header=BB4_32 Depth=1
	s_waitcnt vmcnt(0)
	v_mov_b32_e32 v8, 0
	s_lshl_b64 s[0:1], s[8:9], 3
	s_mov_b64 s[10:11], 0
	v_mov_b32_e32 v9, 0
	s_mov_b64 s[12:13], s[6:7]
.LBB4_35:                               ;   Parent Loop BB4_32 Depth=1
                                        ; =>  This Inner Loop Header: Depth=2
	global_load_ubyte v2, v26, s[12:13]
	s_waitcnt vmcnt(0)
	v_and_b32_e32 v25, 0xffff, v2
	v_lshlrev_b64 v[2:3], s10, v[25:26]
	s_add_u32 s10, s10, 8
	s_addc_u32 s11, s11, 0
	s_add_u32 s12, s12, 1
	s_addc_u32 s13, s13, 0
	v_or_b32_e32 v8, v2, v8
	s_cmp_lg_u32 s0, s10
	v_or_b32_e32 v9, v3, v9
	s_cbranch_scc1 .LBB4_35
	s_branch .LBB4_38
.LBB4_36:                               ;   in Loop: Header=BB4_32 Depth=1
	s_mov_b32 s14, 0
	s_branch .LBB4_39
.LBB4_37:                               ;   in Loop: Header=BB4_32 Depth=1
	s_waitcnt vmcnt(0)
	v_mov_b32_e32 v8, 0
	v_mov_b32_e32 v9, 0
.LBB4_38:                               ;   in Loop: Header=BB4_32 Depth=1
	s_mov_b64 s[0:1], s[6:7]
	s_mov_b32 s14, 0
	s_cbranch_execnz .LBB4_40
.LBB4_39:                               ;   in Loop: Header=BB4_32 Depth=1
	global_load_dwordx2 v[8:9], v26, s[6:7]
	s_add_i32 s14, s8, -8
.LBB4_40:                               ;   in Loop: Header=BB4_32 Depth=1
	s_add_u32 s10, s0, 8
	s_addc_u32 s11, s1, 0
	s_cmp_gt_u32 s14, 7
	s_cbranch_scc1 .LBB4_44
; %bb.41:                               ;   in Loop: Header=BB4_32 Depth=1
	s_cmp_eq_u32 s14, 0
	s_cbranch_scc1 .LBB4_45
; %bb.42:                               ;   in Loop: Header=BB4_32 Depth=1
	v_mov_b32_e32 v10, 0
	s_mov_b64 s[10:11], 0
	v_mov_b32_e32 v11, 0
	s_mov_b64 s[12:13], 0
.LBB4_43:                               ;   Parent Loop BB4_32 Depth=1
                                        ; =>  This Inner Loop Header: Depth=2
	s_add_u32 s16, s0, s12
	s_addc_u32 s17, s1, s13
	global_load_ubyte v2, v26, s[16:17]
	s_add_u32 s12, s12, 1
	s_addc_u32 s13, s13, 0
	s_waitcnt vmcnt(0)
	v_and_b32_e32 v25, 0xffff, v2
	v_lshlrev_b64 v[2:3], s10, v[25:26]
	s_add_u32 s10, s10, 8
	s_addc_u32 s11, s11, 0
	v_or_b32_e32 v10, v2, v10
	s_cmp_lg_u32 s14, s12
	v_or_b32_e32 v11, v3, v11
	s_cbranch_scc1 .LBB4_43
	s_branch .LBB4_46
.LBB4_44:                               ;   in Loop: Header=BB4_32 Depth=1
                                        ; implicit-def: $vgpr10_vgpr11
	s_mov_b32 s15, 0
	s_branch .LBB4_47
.LBB4_45:                               ;   in Loop: Header=BB4_32 Depth=1
	v_mov_b32_e32 v10, 0
	v_mov_b32_e32 v11, 0
.LBB4_46:                               ;   in Loop: Header=BB4_32 Depth=1
	s_mov_b64 s[10:11], s[0:1]
	s_mov_b32 s15, 0
	s_cbranch_execnz .LBB4_48
.LBB4_47:                               ;   in Loop: Header=BB4_32 Depth=1
	global_load_dwordx2 v[10:11], v26, s[0:1]
	s_add_i32 s15, s14, -8
.LBB4_48:                               ;   in Loop: Header=BB4_32 Depth=1
	s_add_u32 s0, s10, 8
	s_addc_u32 s1, s11, 0
	s_cmp_gt_u32 s15, 7
	s_cbranch_scc1 .LBB4_52
; %bb.49:                               ;   in Loop: Header=BB4_32 Depth=1
	s_cmp_eq_u32 s15, 0
	s_cbranch_scc1 .LBB4_53
; %bb.50:                               ;   in Loop: Header=BB4_32 Depth=1
	v_mov_b32_e32 v12, 0
	s_mov_b64 s[0:1], 0
	v_mov_b32_e32 v13, 0
	s_mov_b64 s[12:13], 0
.LBB4_51:                               ;   Parent Loop BB4_32 Depth=1
                                        ; =>  This Inner Loop Header: Depth=2
	s_add_u32 s16, s10, s12
	s_addc_u32 s17, s11, s13
	global_load_ubyte v2, v26, s[16:17]
	s_add_u32 s12, s12, 1
	s_addc_u32 s13, s13, 0
	s_waitcnt vmcnt(0)
	v_and_b32_e32 v25, 0xffff, v2
	v_lshlrev_b64 v[2:3], s0, v[25:26]
	s_add_u32 s0, s0, 8
	s_addc_u32 s1, s1, 0
	v_or_b32_e32 v12, v2, v12
	s_cmp_lg_u32 s15, s12
	v_or_b32_e32 v13, v3, v13
	s_cbranch_scc1 .LBB4_51
	s_branch .LBB4_54
.LBB4_52:                               ;   in Loop: Header=BB4_32 Depth=1
	s_mov_b32 s14, 0
	s_branch .LBB4_55
.LBB4_53:                               ;   in Loop: Header=BB4_32 Depth=1
	v_mov_b32_e32 v12, 0
	v_mov_b32_e32 v13, 0
.LBB4_54:                               ;   in Loop: Header=BB4_32 Depth=1
	s_mov_b64 s[0:1], s[10:11]
	s_mov_b32 s14, 0
	s_cbranch_execnz .LBB4_56
.LBB4_55:                               ;   in Loop: Header=BB4_32 Depth=1
	global_load_dwordx2 v[12:13], v26, s[10:11]
	s_add_i32 s14, s15, -8
.LBB4_56:                               ;   in Loop: Header=BB4_32 Depth=1
	s_add_u32 s10, s0, 8
	s_addc_u32 s11, s1, 0
	s_cmp_gt_u32 s14, 7
	s_cbranch_scc1 .LBB4_60
; %bb.57:                               ;   in Loop: Header=BB4_32 Depth=1
	s_cmp_eq_u32 s14, 0
	s_cbranch_scc1 .LBB4_61
; %bb.58:                               ;   in Loop: Header=BB4_32 Depth=1
	v_mov_b32_e32 v14, 0
	s_mov_b64 s[10:11], 0
	v_mov_b32_e32 v15, 0
	s_mov_b64 s[12:13], 0
.LBB4_59:                               ;   Parent Loop BB4_32 Depth=1
                                        ; =>  This Inner Loop Header: Depth=2
	s_add_u32 s16, s0, s12
	s_addc_u32 s17, s1, s13
	global_load_ubyte v2, v26, s[16:17]
	s_add_u32 s12, s12, 1
	s_addc_u32 s13, s13, 0
	s_waitcnt vmcnt(0)
	v_and_b32_e32 v25, 0xffff, v2
	v_lshlrev_b64 v[2:3], s10, v[25:26]
	s_add_u32 s10, s10, 8
	s_addc_u32 s11, s11, 0
	v_or_b32_e32 v14, v2, v14
	s_cmp_lg_u32 s14, s12
	v_or_b32_e32 v15, v3, v15
	s_cbranch_scc1 .LBB4_59
	s_branch .LBB4_62
.LBB4_60:                               ;   in Loop: Header=BB4_32 Depth=1
                                        ; implicit-def: $vgpr14_vgpr15
	s_mov_b32 s15, 0
	s_branch .LBB4_63
.LBB4_61:                               ;   in Loop: Header=BB4_32 Depth=1
	v_mov_b32_e32 v14, 0
	v_mov_b32_e32 v15, 0
.LBB4_62:                               ;   in Loop: Header=BB4_32 Depth=1
	s_mov_b64 s[10:11], s[0:1]
	s_mov_b32 s15, 0
	s_cbranch_execnz .LBB4_64
.LBB4_63:                               ;   in Loop: Header=BB4_32 Depth=1
	global_load_dwordx2 v[14:15], v26, s[0:1]
	s_add_i32 s15, s14, -8
.LBB4_64:                               ;   in Loop: Header=BB4_32 Depth=1
	s_add_u32 s0, s10, 8
	s_addc_u32 s1, s11, 0
	s_cmp_gt_u32 s15, 7
	s_cbranch_scc1 .LBB4_68
; %bb.65:                               ;   in Loop: Header=BB4_32 Depth=1
	s_cmp_eq_u32 s15, 0
	s_cbranch_scc1 .LBB4_69
; %bb.66:                               ;   in Loop: Header=BB4_32 Depth=1
	v_mov_b32_e32 v16, 0
	s_mov_b64 s[0:1], 0
	v_mov_b32_e32 v17, 0
	s_mov_b64 s[12:13], 0
.LBB4_67:                               ;   Parent Loop BB4_32 Depth=1
                                        ; =>  This Inner Loop Header: Depth=2
	s_add_u32 s16, s10, s12
	s_addc_u32 s17, s11, s13
	global_load_ubyte v2, v26, s[16:17]
	s_add_u32 s12, s12, 1
	s_addc_u32 s13, s13, 0
	s_waitcnt vmcnt(0)
	v_and_b32_e32 v25, 0xffff, v2
	v_lshlrev_b64 v[2:3], s0, v[25:26]
	s_add_u32 s0, s0, 8
	s_addc_u32 s1, s1, 0
	v_or_b32_e32 v16, v2, v16
	s_cmp_lg_u32 s15, s12
	v_or_b32_e32 v17, v3, v17
	s_cbranch_scc1 .LBB4_67
	s_branch .LBB4_70
.LBB4_68:                               ;   in Loop: Header=BB4_32 Depth=1
	s_mov_b32 s14, 0
	s_branch .LBB4_71
.LBB4_69:                               ;   in Loop: Header=BB4_32 Depth=1
	v_mov_b32_e32 v16, 0
	v_mov_b32_e32 v17, 0
.LBB4_70:                               ;   in Loop: Header=BB4_32 Depth=1
	s_mov_b64 s[0:1], s[10:11]
	s_mov_b32 s14, 0
	s_cbranch_execnz .LBB4_72
.LBB4_71:                               ;   in Loop: Header=BB4_32 Depth=1
	global_load_dwordx2 v[16:17], v26, s[10:11]
	s_add_i32 s14, s15, -8
.LBB4_72:                               ;   in Loop: Header=BB4_32 Depth=1
	s_add_u32 s10, s0, 8
	s_addc_u32 s11, s1, 0
	s_cmp_gt_u32 s14, 7
	s_cbranch_scc1 .LBB4_76
; %bb.73:                               ;   in Loop: Header=BB4_32 Depth=1
	s_cmp_eq_u32 s14, 0
	s_cbranch_scc1 .LBB4_77
; %bb.74:                               ;   in Loop: Header=BB4_32 Depth=1
	v_mov_b32_e32 v18, 0
	s_mov_b64 s[10:11], 0
	v_mov_b32_e32 v19, 0
	s_mov_b64 s[12:13], 0
.LBB4_75:                               ;   Parent Loop BB4_32 Depth=1
                                        ; =>  This Inner Loop Header: Depth=2
	s_add_u32 s16, s0, s12
	s_addc_u32 s17, s1, s13
	global_load_ubyte v2, v26, s[16:17]
	s_add_u32 s12, s12, 1
	s_addc_u32 s13, s13, 0
	s_waitcnt vmcnt(0)
	v_and_b32_e32 v25, 0xffff, v2
	v_lshlrev_b64 v[2:3], s10, v[25:26]
	s_add_u32 s10, s10, 8
	s_addc_u32 s11, s11, 0
	v_or_b32_e32 v18, v2, v18
	s_cmp_lg_u32 s14, s12
	v_or_b32_e32 v19, v3, v19
	s_cbranch_scc1 .LBB4_75
	s_branch .LBB4_78
.LBB4_76:                               ;   in Loop: Header=BB4_32 Depth=1
                                        ; implicit-def: $vgpr18_vgpr19
	s_mov_b32 s15, 0
	s_branch .LBB4_79
.LBB4_77:                               ;   in Loop: Header=BB4_32 Depth=1
	v_mov_b32_e32 v18, 0
	v_mov_b32_e32 v19, 0
.LBB4_78:                               ;   in Loop: Header=BB4_32 Depth=1
	s_mov_b64 s[10:11], s[0:1]
	s_mov_b32 s15, 0
	s_cbranch_execnz .LBB4_80
.LBB4_79:                               ;   in Loop: Header=BB4_32 Depth=1
	global_load_dwordx2 v[18:19], v26, s[0:1]
	s_add_i32 s15, s14, -8
.LBB4_80:                               ;   in Loop: Header=BB4_32 Depth=1
	s_cmp_gt_u32 s15, 7
	s_cbranch_scc1 .LBB4_84
; %bb.81:                               ;   in Loop: Header=BB4_32 Depth=1
	s_cmp_eq_u32 s15, 0
	s_cbranch_scc1 .LBB4_85
; %bb.82:                               ;   in Loop: Header=BB4_32 Depth=1
	v_mov_b32_e32 v20, 0
	s_mov_b64 s[0:1], 0
	v_mov_b32_e32 v21, 0
	s_mov_b64 s[12:13], s[10:11]
.LBB4_83:                               ;   Parent Loop BB4_32 Depth=1
                                        ; =>  This Inner Loop Header: Depth=2
	global_load_ubyte v2, v26, s[12:13]
	s_add_i32 s15, s15, -1
	s_waitcnt vmcnt(0)
	v_and_b32_e32 v25, 0xffff, v2
	v_lshlrev_b64 v[2:3], s0, v[25:26]
	s_add_u32 s0, s0, 8
	s_addc_u32 s1, s1, 0
	s_add_u32 s12, s12, 1
	s_addc_u32 s13, s13, 0
	v_or_b32_e32 v20, v2, v20
	s_cmp_lg_u32 s15, 0
	v_or_b32_e32 v21, v3, v21
	s_cbranch_scc1 .LBB4_83
	s_branch .LBB4_86
.LBB4_84:                               ;   in Loop: Header=BB4_32 Depth=1
	s_branch .LBB4_87
.LBB4_85:                               ;   in Loop: Header=BB4_32 Depth=1
	v_mov_b32_e32 v20, 0
	v_mov_b32_e32 v21, 0
.LBB4_86:                               ;   in Loop: Header=BB4_32 Depth=1
	s_cbranch_execnz .LBB4_88
.LBB4_87:                               ;   in Loop: Header=BB4_32 Depth=1
	global_load_dwordx2 v[20:21], v26, s[10:11]
.LBB4_88:                               ;   in Loop: Header=BB4_32 Depth=1
	v_readfirstlane_b32 s0, v30
	v_mov_b32_e32 v2, 0
	v_mov_b32_e32 v3, 0
	v_cmp_eq_u32_e64 s[0:1], s0, v30
	s_and_saveexec_b64 s[10:11], s[0:1]
	s_cbranch_execz .LBB4_94
; %bb.89:                               ;   in Loop: Header=BB4_32 Depth=1
	global_load_dwordx2 v[24:25], v26, s[2:3] offset:24 glc
	s_waitcnt vmcnt(0)
	buffer_wbinvl1_vol
	global_load_dwordx2 v[2:3], v26, s[2:3] offset:40
	global_load_dwordx2 v[22:23], v26, s[2:3]
	s_waitcnt vmcnt(1)
	v_and_b32_e32 v2, v2, v24
	v_and_b32_e32 v3, v3, v25
	v_mul_lo_u32 v3, v3, 24
	v_mul_hi_u32 v27, v2, 24
	v_mul_lo_u32 v2, v2, 24
	v_add_u32_e32 v3, v27, v3
	s_waitcnt vmcnt(0)
	v_add_co_u32_e32 v2, vcc, v22, v2
	v_addc_co_u32_e32 v3, vcc, v23, v3, vcc
	global_load_dwordx2 v[22:23], v[2:3], off glc
	s_waitcnt vmcnt(0)
	global_atomic_cmpswap_x2 v[2:3], v26, v[22:25], s[2:3] offset:24 glc
	s_waitcnt vmcnt(0)
	buffer_wbinvl1_vol
	v_cmp_ne_u64_e32 vcc, v[2:3], v[24:25]
	s_and_saveexec_b64 s[12:13], vcc
	s_cbranch_execz .LBB4_93
; %bb.90:                               ;   in Loop: Header=BB4_32 Depth=1
	s_mov_b64 s[14:15], 0
.LBB4_91:                               ;   Parent Loop BB4_32 Depth=1
                                        ; =>  This Inner Loop Header: Depth=2
	s_sleep 1
	global_load_dwordx2 v[22:23], v26, s[2:3] offset:40
	global_load_dwordx2 v[27:28], v26, s[2:3]
	v_mov_b32_e32 v25, v3
	v_mov_b32_e32 v24, v2
	s_waitcnt vmcnt(1)
	v_and_b32_e32 v2, v22, v24
	s_waitcnt vmcnt(0)
	v_mad_u64_u32 v[2:3], s[16:17], v2, 24, v[27:28]
	v_and_b32_e32 v22, v23, v25
	v_mad_u64_u32 v[22:23], s[16:17], v22, 24, v[3:4]
	v_mov_b32_e32 v3, v22
	global_load_dwordx2 v[22:23], v[2:3], off glc
	s_waitcnt vmcnt(0)
	global_atomic_cmpswap_x2 v[2:3], v26, v[22:25], s[2:3] offset:24 glc
	s_waitcnt vmcnt(0)
	buffer_wbinvl1_vol
	v_cmp_eq_u64_e32 vcc, v[2:3], v[24:25]
	s_or_b64 s[14:15], vcc, s[14:15]
	s_andn2_b64 exec, exec, s[14:15]
	s_cbranch_execnz .LBB4_91
; %bb.92:                               ;   in Loop: Header=BB4_32 Depth=1
	s_or_b64 exec, exec, s[14:15]
.LBB4_93:                               ;   in Loop: Header=BB4_32 Depth=1
	s_or_b64 exec, exec, s[12:13]
.LBB4_94:                               ;   in Loop: Header=BB4_32 Depth=1
	s_or_b64 exec, exec, s[10:11]
	global_load_dwordx2 v[27:28], v26, s[2:3] offset:40
	global_load_dwordx4 v[22:25], v26, s[2:3]
	v_readfirstlane_b32 s11, v3
	v_readfirstlane_b32 s10, v2
	s_mov_b64 s[12:13], exec
	s_waitcnt vmcnt(1)
	v_readfirstlane_b32 s14, v27
	v_readfirstlane_b32 s15, v28
	s_and_b64 s[14:15], s[14:15], s[10:11]
	s_mul_i32 s16, s15, 24
	s_mul_hi_u32 s17, s14, 24
	s_mul_i32 s18, s14, 24
	s_add_i32 s16, s17, s16
	v_mov_b32_e32 v2, s16
	s_waitcnt vmcnt(0)
	v_add_co_u32_e32 v27, vcc, s18, v22
	v_addc_co_u32_e32 v28, vcc, v23, v2, vcc
	s_and_saveexec_b64 s[16:17], s[0:1]
	s_cbranch_execz .LBB4_96
; %bb.95:                               ;   in Loop: Header=BB4_32 Depth=1
	v_mov_b32_e32 v2, s12
	v_mov_b32_e32 v3, s13
	global_store_dwordx4 v[27:28], v[2:5], off offset:8
.LBB4_96:                               ;   in Loop: Header=BB4_32 Depth=1
	s_or_b64 exec, exec, s[16:17]
	s_lshl_b64 s[12:13], s[14:15], 12
	v_cmp_gt_u64_e64 s[14:15], s[4:5], 56
	v_mov_b32_e32 v2, s13
	v_add_co_u32_e32 v24, vcc, s12, v24
	s_and_b64 s[12:13], s[14:15], exec
	s_cselect_b32 s12, 0, 2
	s_lshl_b32 s13, s8, 2
	v_addc_co_u32_e32 v31, vcc, v25, v2, vcc
	s_add_i32 s13, s13, 28
	v_and_b32_e32 v2, 0xffffff1f, v6
	s_and_b32 s13, s13, 0x1e0
	v_or_b32_e32 v2, s12, v2
	v_or_b32_e32 v6, s13, v2
	v_readfirstlane_b32 s12, v24
	v_readfirstlane_b32 s13, v31
	s_nop 4
	global_store_dwordx4 v29, v[6:9], s[12:13]
	global_store_dwordx4 v29, v[10:13], s[12:13] offset:16
	global_store_dwordx4 v29, v[14:17], s[12:13] offset:32
	;; [unrolled: 1-line block ×3, first 2 shown]
	s_and_saveexec_b64 s[12:13], s[0:1]
	s_cbranch_execz .LBB4_104
; %bb.97:                               ;   in Loop: Header=BB4_32 Depth=1
	global_load_dwordx2 v[10:11], v26, s[2:3] offset:32 glc
	global_load_dwordx2 v[2:3], v26, s[2:3] offset:40
	v_mov_b32_e32 v8, s10
	v_mov_b32_e32 v9, s11
	s_waitcnt vmcnt(0)
	v_readfirstlane_b32 s14, v2
	v_readfirstlane_b32 s15, v3
	s_and_b64 s[14:15], s[14:15], s[10:11]
	s_mul_i32 s15, s15, 24
	s_mul_hi_u32 s16, s14, 24
	s_mul_i32 s14, s14, 24
	s_add_i32 s15, s16, s15
	v_mov_b32_e32 v3, s15
	v_add_co_u32_e32 v2, vcc, s14, v22
	v_addc_co_u32_e32 v3, vcc, v23, v3, vcc
	global_store_dwordx2 v[2:3], v[10:11], off
	s_waitcnt vmcnt(0)
	global_atomic_cmpswap_x2 v[8:9], v26, v[8:11], s[2:3] offset:32 glc
	s_waitcnt vmcnt(0)
	v_cmp_ne_u64_e32 vcc, v[8:9], v[10:11]
	s_and_saveexec_b64 s[14:15], vcc
	s_cbranch_execz .LBB4_100
; %bb.98:                               ;   in Loop: Header=BB4_32 Depth=1
	s_mov_b64 s[16:17], 0
.LBB4_99:                               ;   Parent Loop BB4_32 Depth=1
                                        ; =>  This Inner Loop Header: Depth=2
	s_sleep 1
	global_store_dwordx2 v[2:3], v[8:9], off
	v_mov_b32_e32 v6, s10
	v_mov_b32_e32 v7, s11
	s_waitcnt vmcnt(0)
	global_atomic_cmpswap_x2 v[6:7], v26, v[6:9], s[2:3] offset:32 glc
	s_waitcnt vmcnt(0)
	v_cmp_eq_u64_e32 vcc, v[6:7], v[8:9]
	v_mov_b32_e32 v9, v7
	s_or_b64 s[16:17], vcc, s[16:17]
	v_mov_b32_e32 v8, v6
	s_andn2_b64 exec, exec, s[16:17]
	s_cbranch_execnz .LBB4_99
.LBB4_100:                              ;   in Loop: Header=BB4_32 Depth=1
	s_or_b64 exec, exec, s[14:15]
	global_load_dwordx2 v[2:3], v26, s[2:3] offset:16
	s_mov_b64 s[16:17], exec
	v_mbcnt_lo_u32_b32 v6, s16, 0
	v_mbcnt_hi_u32_b32 v6, s17, v6
	v_cmp_eq_u32_e32 vcc, 0, v6
	s_and_saveexec_b64 s[14:15], vcc
	s_cbranch_execz .LBB4_102
; %bb.101:                              ;   in Loop: Header=BB4_32 Depth=1
	s_bcnt1_i32_b64 s16, s[16:17]
	v_mov_b32_e32 v25, s16
	s_waitcnt vmcnt(0)
	global_atomic_add_x2 v[2:3], v[25:26], off offset:8
.LBB4_102:                              ;   in Loop: Header=BB4_32 Depth=1
	s_or_b64 exec, exec, s[14:15]
	s_waitcnt vmcnt(0)
	global_load_dwordx2 v[6:7], v[2:3], off offset:16
	s_waitcnt vmcnt(0)
	v_cmp_eq_u64_e32 vcc, 0, v[6:7]
	s_cbranch_vccnz .LBB4_104
; %bb.103:                              ;   in Loop: Header=BB4_32 Depth=1
	global_load_dword v25, v[2:3], off offset:24
	s_waitcnt vmcnt(0)
	v_readfirstlane_b32 s14, v25
	s_and_b32 m0, s14, 0xffffff
	global_store_dwordx2 v[6:7], v[25:26], off
	s_sendmsg sendmsg(MSG_INTERRUPT)
.LBB4_104:                              ;   in Loop: Header=BB4_32 Depth=1
	s_or_b64 exec, exec, s[12:13]
	v_add_co_u32_e32 v2, vcc, v24, v29
	v_addc_co_u32_e32 v3, vcc, 0, v31, vcc
	s_branch .LBB4_108
.LBB4_105:                              ;   in Loop: Header=BB4_108 Depth=2
	s_or_b64 exec, exec, s[12:13]
	v_readfirstlane_b32 s12, v6
	s_cmp_eq_u32 s12, 0
	s_cbranch_scc1 .LBB4_107
; %bb.106:                              ;   in Loop: Header=BB4_108 Depth=2
	s_sleep 1
	s_cbranch_execnz .LBB4_108
	s_branch .LBB4_110
.LBB4_107:                              ;   in Loop: Header=BB4_32 Depth=1
	s_branch .LBB4_110
.LBB4_108:                              ;   Parent Loop BB4_32 Depth=1
                                        ; =>  This Inner Loop Header: Depth=2
	v_mov_b32_e32 v6, 1
	s_and_saveexec_b64 s[12:13], s[0:1]
	s_cbranch_execz .LBB4_105
; %bb.109:                              ;   in Loop: Header=BB4_108 Depth=2
	global_load_dword v6, v[27:28], off offset:20 glc
	s_waitcnt vmcnt(0)
	buffer_wbinvl1_vol
	v_and_b32_e32 v6, 1, v6
	s_branch .LBB4_105
.LBB4_110:                              ;   in Loop: Header=BB4_32 Depth=1
	global_load_dwordx4 v[6:9], v[2:3], off
	s_and_saveexec_b64 s[12:13], s[0:1]
	s_cbranch_execz .LBB4_31
; %bb.111:                              ;   in Loop: Header=BB4_32 Depth=1
	global_load_dwordx2 v[2:3], v26, s[2:3] offset:40
	global_load_dwordx2 v[12:13], v26, s[2:3] offset:24 glc
	global_load_dwordx2 v[8:9], v26, s[2:3]
	s_waitcnt vmcnt(2)
	v_readfirstlane_b32 s14, v2
	v_readfirstlane_b32 s15, v3
	s_add_u32 s16, s14, 1
	s_addc_u32 s17, s15, 0
	s_add_u32 s0, s16, s10
	s_addc_u32 s1, s17, s11
	s_cmp_eq_u64 s[0:1], 0
	s_cselect_b32 s1, s17, s1
	s_cselect_b32 s0, s16, s0
	s_and_b64 s[10:11], s[0:1], s[14:15]
	s_mul_i32 s11, s11, 24
	s_mul_hi_u32 s14, s10, 24
	s_mul_i32 s10, s10, 24
	s_add_i32 s11, s14, s11
	v_mov_b32_e32 v3, s11
	s_waitcnt vmcnt(0)
	v_add_co_u32_e32 v2, vcc, s10, v8
	v_addc_co_u32_e32 v3, vcc, v9, v3, vcc
	v_mov_b32_e32 v10, s0
	global_store_dwordx2 v[2:3], v[12:13], off
	v_mov_b32_e32 v11, s1
	s_waitcnt vmcnt(0)
	global_atomic_cmpswap_x2 v[10:11], v26, v[10:13], s[2:3] offset:24 glc
	s_waitcnt vmcnt(0)
	v_cmp_ne_u64_e32 vcc, v[10:11], v[12:13]
	s_and_b64 exec, exec, vcc
	s_cbranch_execz .LBB4_31
; %bb.112:                              ;   in Loop: Header=BB4_32 Depth=1
	s_mov_b64 s[10:11], 0
.LBB4_113:                              ;   Parent Loop BB4_32 Depth=1
                                        ; =>  This Inner Loop Header: Depth=2
	s_sleep 1
	global_store_dwordx2 v[2:3], v[10:11], off
	v_mov_b32_e32 v8, s0
	v_mov_b32_e32 v9, s1
	s_waitcnt vmcnt(0)
	global_atomic_cmpswap_x2 v[8:9], v26, v[8:11], s[2:3] offset:24 glc
	s_waitcnt vmcnt(0)
	v_cmp_eq_u64_e32 vcc, v[8:9], v[10:11]
	v_mov_b32_e32 v11, v9
	s_or_b64 s[10:11], vcc, s[10:11]
	v_mov_b32_e32 v10, v8
	s_andn2_b64 exec, exec, s[10:11]
	s_cbranch_execnz .LBB4_113
	s_branch .LBB4_31
.LBB4_114:
	s_branch .LBB4_141
.LBB4_115:
	s_cbranch_execz .LBB4_141
; %bb.116:
	v_readfirstlane_b32 s0, v30
	s_waitcnt vmcnt(0)
	v_mov_b32_e32 v8, 0
	v_mov_b32_e32 v9, 0
	v_cmp_eq_u32_e64 s[0:1], s0, v30
	s_and_saveexec_b64 s[4:5], s[0:1]
	s_cbranch_execz .LBB4_122
; %bb.117:
	v_mov_b32_e32 v2, 0
	global_load_dwordx2 v[5:6], v2, s[2:3] offset:24 glc
	s_waitcnt vmcnt(0)
	buffer_wbinvl1_vol
	global_load_dwordx2 v[3:4], v2, s[2:3] offset:40
	global_load_dwordx2 v[7:8], v2, s[2:3]
	s_waitcnt vmcnt(1)
	v_and_b32_e32 v3, v3, v5
	v_and_b32_e32 v4, v4, v6
	v_mul_lo_u32 v4, v4, 24
	v_mul_hi_u32 v9, v3, 24
	v_mul_lo_u32 v3, v3, 24
	v_add_u32_e32 v4, v9, v4
	s_waitcnt vmcnt(0)
	v_add_co_u32_e32 v3, vcc, v7, v3
	v_addc_co_u32_e32 v4, vcc, v8, v4, vcc
	global_load_dwordx2 v[3:4], v[3:4], off glc
	s_waitcnt vmcnt(0)
	global_atomic_cmpswap_x2 v[8:9], v2, v[3:6], s[2:3] offset:24 glc
	s_waitcnt vmcnt(0)
	buffer_wbinvl1_vol
	v_cmp_ne_u64_e32 vcc, v[8:9], v[5:6]
	s_and_saveexec_b64 s[6:7], vcc
	s_cbranch_execz .LBB4_121
; %bb.118:
	s_mov_b64 s[8:9], 0
.LBB4_119:                              ; =>This Inner Loop Header: Depth=1
	s_sleep 1
	global_load_dwordx2 v[3:4], v2, s[2:3] offset:40
	global_load_dwordx2 v[10:11], v2, s[2:3]
	v_mov_b32_e32 v5, v8
	v_mov_b32_e32 v6, v9
	s_waitcnt vmcnt(1)
	v_and_b32_e32 v3, v3, v5
	s_waitcnt vmcnt(0)
	v_mad_u64_u32 v[7:8], s[10:11], v3, 24, v[10:11]
	v_and_b32_e32 v4, v4, v6
	v_mov_b32_e32 v3, v8
	v_mad_u64_u32 v[3:4], s[10:11], v4, 24, v[3:4]
	v_mov_b32_e32 v8, v3
	global_load_dwordx2 v[3:4], v[7:8], off glc
	s_waitcnt vmcnt(0)
	global_atomic_cmpswap_x2 v[8:9], v2, v[3:6], s[2:3] offset:24 glc
	s_waitcnt vmcnt(0)
	buffer_wbinvl1_vol
	v_cmp_eq_u64_e32 vcc, v[8:9], v[5:6]
	s_or_b64 s[8:9], vcc, s[8:9]
	s_andn2_b64 exec, exec, s[8:9]
	s_cbranch_execnz .LBB4_119
; %bb.120:
	s_or_b64 exec, exec, s[8:9]
.LBB4_121:
	s_or_b64 exec, exec, s[6:7]
.LBB4_122:
	s_or_b64 exec, exec, s[4:5]
	v_mov_b32_e32 v2, 0
	global_load_dwordx2 v[10:11], v2, s[2:3] offset:40
	global_load_dwordx4 v[4:7], v2, s[2:3]
	v_readfirstlane_b32 s5, v9
	v_readfirstlane_b32 s4, v8
	s_mov_b64 s[6:7], exec
	s_waitcnt vmcnt(1)
	v_readfirstlane_b32 s8, v10
	v_readfirstlane_b32 s9, v11
	s_and_b64 s[8:9], s[8:9], s[4:5]
	s_mul_i32 s10, s9, 24
	s_mul_hi_u32 s11, s8, 24
	s_mul_i32 s12, s8, 24
	s_add_i32 s10, s11, s10
	v_mov_b32_e32 v3, s10
	s_waitcnt vmcnt(0)
	v_add_co_u32_e32 v8, vcc, s12, v4
	v_addc_co_u32_e32 v9, vcc, v5, v3, vcc
	s_and_saveexec_b64 s[10:11], s[0:1]
	s_cbranch_execz .LBB4_124
; %bb.123:
	v_mov_b32_e32 v11, s7
	v_mov_b32_e32 v10, s6
	;; [unrolled: 1-line block ×4, first 2 shown]
	global_store_dwordx4 v[8:9], v[10:13], off offset:8
.LBB4_124:
	s_or_b64 exec, exec, s[10:11]
	s_lshl_b64 s[6:7], s[8:9], 12
	v_mov_b32_e32 v3, s7
	v_add_co_u32_e32 v6, vcc, s6, v6
	v_addc_co_u32_e32 v7, vcc, v7, v3, vcc
	s_movk_i32 s6, 0xff1d
	v_and_or_b32 v0, v0, s6, 34
	s_mov_b32 s8, 0
	v_mov_b32_e32 v3, v2
	v_readfirstlane_b32 s6, v6
	v_readfirstlane_b32 s7, v7
	s_mov_b32 s9, s8
	s_mov_b32 s10, s8
	;; [unrolled: 1-line block ×3, first 2 shown]
	s_nop 1
	global_store_dwordx4 v29, v[0:3], s[6:7]
	s_nop 0
	v_mov_b32_e32 v0, s8
	v_mov_b32_e32 v1, s9
	;; [unrolled: 1-line block ×4, first 2 shown]
	global_store_dwordx4 v29, v[0:3], s[6:7] offset:16
	global_store_dwordx4 v29, v[0:3], s[6:7] offset:32
	;; [unrolled: 1-line block ×3, first 2 shown]
	s_and_saveexec_b64 s[6:7], s[0:1]
	s_cbranch_execz .LBB4_132
; %bb.125:
	v_mov_b32_e32 v6, 0
	global_load_dwordx2 v[12:13], v6, s[2:3] offset:32 glc
	global_load_dwordx2 v[0:1], v6, s[2:3] offset:40
	v_mov_b32_e32 v10, s4
	v_mov_b32_e32 v11, s5
	s_waitcnt vmcnt(0)
	v_readfirstlane_b32 s8, v0
	v_readfirstlane_b32 s9, v1
	s_and_b64 s[8:9], s[8:9], s[4:5]
	s_mul_i32 s9, s9, 24
	s_mul_hi_u32 s10, s8, 24
	s_mul_i32 s8, s8, 24
	s_add_i32 s9, s10, s9
	v_mov_b32_e32 v0, s9
	v_add_co_u32_e32 v4, vcc, s8, v4
	v_addc_co_u32_e32 v5, vcc, v5, v0, vcc
	global_store_dwordx2 v[4:5], v[12:13], off
	s_waitcnt vmcnt(0)
	global_atomic_cmpswap_x2 v[2:3], v6, v[10:13], s[2:3] offset:32 glc
	s_waitcnt vmcnt(0)
	v_cmp_ne_u64_e32 vcc, v[2:3], v[12:13]
	s_and_saveexec_b64 s[8:9], vcc
	s_cbranch_execz .LBB4_128
; %bb.126:
	s_mov_b64 s[10:11], 0
.LBB4_127:                              ; =>This Inner Loop Header: Depth=1
	s_sleep 1
	global_store_dwordx2 v[4:5], v[2:3], off
	v_mov_b32_e32 v0, s4
	v_mov_b32_e32 v1, s5
	s_waitcnt vmcnt(0)
	global_atomic_cmpswap_x2 v[0:1], v6, v[0:3], s[2:3] offset:32 glc
	s_waitcnt vmcnt(0)
	v_cmp_eq_u64_e32 vcc, v[0:1], v[2:3]
	v_mov_b32_e32 v3, v1
	s_or_b64 s[10:11], vcc, s[10:11]
	v_mov_b32_e32 v2, v0
	s_andn2_b64 exec, exec, s[10:11]
	s_cbranch_execnz .LBB4_127
.LBB4_128:
	s_or_b64 exec, exec, s[8:9]
	v_mov_b32_e32 v3, 0
	global_load_dwordx2 v[0:1], v3, s[2:3] offset:16
	s_mov_b64 s[8:9], exec
	v_mbcnt_lo_u32_b32 v2, s8, 0
	v_mbcnt_hi_u32_b32 v2, s9, v2
	v_cmp_eq_u32_e32 vcc, 0, v2
	s_and_saveexec_b64 s[10:11], vcc
	s_cbranch_execz .LBB4_130
; %bb.129:
	s_bcnt1_i32_b64 s8, s[8:9]
	v_mov_b32_e32 v2, s8
	s_waitcnt vmcnt(0)
	global_atomic_add_x2 v[0:1], v[2:3], off offset:8
.LBB4_130:
	s_or_b64 exec, exec, s[10:11]
	s_waitcnt vmcnt(0)
	global_load_dwordx2 v[2:3], v[0:1], off offset:16
	s_waitcnt vmcnt(0)
	v_cmp_eq_u64_e32 vcc, 0, v[2:3]
	s_cbranch_vccnz .LBB4_132
; %bb.131:
	global_load_dword v0, v[0:1], off offset:24
	v_mov_b32_e32 v1, 0
	s_waitcnt vmcnt(0)
	v_readfirstlane_b32 s8, v0
	s_and_b32 m0, s8, 0xffffff
	global_store_dwordx2 v[2:3], v[0:1], off
	s_sendmsg sendmsg(MSG_INTERRUPT)
.LBB4_132:
	s_or_b64 exec, exec, s[6:7]
	s_branch .LBB4_136
.LBB4_133:                              ;   in Loop: Header=BB4_136 Depth=1
	s_or_b64 exec, exec, s[6:7]
	v_readfirstlane_b32 s6, v0
	s_cmp_eq_u32 s6, 0
	s_cbranch_scc1 .LBB4_135
; %bb.134:                              ;   in Loop: Header=BB4_136 Depth=1
	s_sleep 1
	s_cbranch_execnz .LBB4_136
	s_branch .LBB4_138
.LBB4_135:
	s_branch .LBB4_138
.LBB4_136:                              ; =>This Inner Loop Header: Depth=1
	v_mov_b32_e32 v0, 1
	s_and_saveexec_b64 s[6:7], s[0:1]
	s_cbranch_execz .LBB4_133
; %bb.137:                              ;   in Loop: Header=BB4_136 Depth=1
	global_load_dword v0, v[8:9], off offset:20 glc
	s_waitcnt vmcnt(0)
	buffer_wbinvl1_vol
	v_and_b32_e32 v0, 1, v0
	s_branch .LBB4_133
.LBB4_138:
	s_and_saveexec_b64 s[6:7], s[0:1]
	s_cbranch_execz .LBB4_141
; %bb.139:
	v_mov_b32_e32 v6, 0
	global_load_dwordx2 v[0:1], v6, s[2:3] offset:40
	global_load_dwordx2 v[9:10], v6, s[2:3] offset:24 glc
	global_load_dwordx2 v[2:3], v6, s[2:3]
	s_waitcnt vmcnt(2)
	v_readfirstlane_b32 s6, v0
	v_readfirstlane_b32 s7, v1
	s_add_u32 s8, s6, 1
	s_addc_u32 s9, s7, 0
	s_add_u32 s0, s8, s4
	s_addc_u32 s1, s9, s5
	s_cmp_eq_u64 s[0:1], 0
	s_cselect_b32 s1, s9, s1
	s_cselect_b32 s0, s8, s0
	s_and_b64 s[4:5], s[0:1], s[6:7]
	s_mul_i32 s5, s5, 24
	s_mul_hi_u32 s6, s4, 24
	s_mul_i32 s4, s4, 24
	s_add_i32 s5, s6, s5
	v_mov_b32_e32 v0, s5
	s_waitcnt vmcnt(0)
	v_add_co_u32_e32 v4, vcc, s4, v2
	v_addc_co_u32_e32 v5, vcc, v3, v0, vcc
	v_mov_b32_e32 v7, s0
	global_store_dwordx2 v[4:5], v[9:10], off
	v_mov_b32_e32 v8, s1
	s_waitcnt vmcnt(0)
	global_atomic_cmpswap_x2 v[2:3], v6, v[7:10], s[2:3] offset:24 glc
	s_mov_b64 s[4:5], 0
	s_waitcnt vmcnt(0)
	v_cmp_ne_u64_e32 vcc, v[2:3], v[9:10]
	s_and_b64 exec, exec, vcc
	s_cbranch_execz .LBB4_141
.LBB4_140:                              ; =>This Inner Loop Header: Depth=1
	s_sleep 1
	global_store_dwordx2 v[4:5], v[2:3], off
	v_mov_b32_e32 v0, s0
	v_mov_b32_e32 v1, s1
	s_waitcnt vmcnt(0)
	global_atomic_cmpswap_x2 v[0:1], v6, v[0:3], s[2:3] offset:24 glc
	s_waitcnt vmcnt(0)
	v_cmp_eq_u64_e32 vcc, v[0:1], v[2:3]
	v_mov_b32_e32 v3, v1
	s_or_b64 s[4:5], vcc, s[4:5]
	v_mov_b32_e32 v2, v0
	s_andn2_b64 exec, exec, s[4:5]
	s_cbranch_execnz .LBB4_140
.LBB4_141:
	s_endpgm
	.section	.rodata,"a",@progbits
	.p2align	6, 0x0
	.amdhsa_kernel _ZN2at6native30tinygemm_m16n8k16_chunk_kernelINS0_10ALayout_RMILNS0_14KReductionTypeE0EEENS0_15BLayout_TC_int4ILi4ELi64EEES4_Li8ELi8EEEvPKvS8_S8_Pviiiiii
		.amdhsa_group_segment_fixed_size 0
		.amdhsa_private_segment_fixed_size 0
		.amdhsa_kernarg_size 312
		.amdhsa_user_sgpr_count 6
		.amdhsa_user_sgpr_private_segment_buffer 1
		.amdhsa_user_sgpr_dispatch_ptr 0
		.amdhsa_user_sgpr_queue_ptr 0
		.amdhsa_user_sgpr_kernarg_segment_ptr 1
		.amdhsa_user_sgpr_dispatch_id 0
		.amdhsa_user_sgpr_flat_scratch_init 0
		.amdhsa_user_sgpr_private_segment_size 0
		.amdhsa_uses_dynamic_stack 0
		.amdhsa_system_sgpr_private_segment_wavefront_offset 0
		.amdhsa_system_sgpr_workgroup_id_x 1
		.amdhsa_system_sgpr_workgroup_id_y 0
		.amdhsa_system_sgpr_workgroup_id_z 0
		.amdhsa_system_sgpr_workgroup_info 0
		.amdhsa_system_vgpr_workitem_id 0
		.amdhsa_next_free_vgpr 32
		.amdhsa_next_free_sgpr 19
		.amdhsa_reserve_vcc 1
		.amdhsa_reserve_flat_scratch 0
		.amdhsa_float_round_mode_32 0
		.amdhsa_float_round_mode_16_64 0
		.amdhsa_float_denorm_mode_32 3
		.amdhsa_float_denorm_mode_16_64 3
		.amdhsa_dx10_clamp 1
		.amdhsa_ieee_mode 1
		.amdhsa_fp16_overflow 0
		.amdhsa_exception_fp_ieee_invalid_op 0
		.amdhsa_exception_fp_denorm_src 0
		.amdhsa_exception_fp_ieee_div_zero 0
		.amdhsa_exception_fp_ieee_overflow 0
		.amdhsa_exception_fp_ieee_underflow 0
		.amdhsa_exception_fp_ieee_inexact 0
		.amdhsa_exception_int_div_zero 0
	.end_amdhsa_kernel
	.section	.text._ZN2at6native30tinygemm_m16n8k16_chunk_kernelINS0_10ALayout_RMILNS0_14KReductionTypeE0EEENS0_15BLayout_TC_int4ILi4ELi64EEES4_Li8ELi8EEEvPKvS8_S8_Pviiiiii,"axG",@progbits,_ZN2at6native30tinygemm_m16n8k16_chunk_kernelINS0_10ALayout_RMILNS0_14KReductionTypeE0EEENS0_15BLayout_TC_int4ILi4ELi64EEES4_Li8ELi8EEEvPKvS8_S8_Pviiiiii,comdat
.Lfunc_end4:
	.size	_ZN2at6native30tinygemm_m16n8k16_chunk_kernelINS0_10ALayout_RMILNS0_14KReductionTypeE0EEENS0_15BLayout_TC_int4ILi4ELi64EEES4_Li8ELi8EEEvPKvS8_S8_Pviiiiii, .Lfunc_end4-_ZN2at6native30tinygemm_m16n8k16_chunk_kernelINS0_10ALayout_RMILNS0_14KReductionTypeE0EEENS0_15BLayout_TC_int4ILi4ELi64EEES4_Li8ELi8EEEvPKvS8_S8_Pviiiiii
                                        ; -- End function
	.set _ZN2at6native30tinygemm_m16n8k16_chunk_kernelINS0_10ALayout_RMILNS0_14KReductionTypeE0EEENS0_15BLayout_TC_int4ILi4ELi64EEES4_Li8ELi8EEEvPKvS8_S8_Pviiiiii.num_vgpr, 32
	.set _ZN2at6native30tinygemm_m16n8k16_chunk_kernelINS0_10ALayout_RMILNS0_14KReductionTypeE0EEENS0_15BLayout_TC_int4ILi4ELi64EEES4_Li8ELi8EEEvPKvS8_S8_Pviiiiii.num_agpr, 0
	.set _ZN2at6native30tinygemm_m16n8k16_chunk_kernelINS0_10ALayout_RMILNS0_14KReductionTypeE0EEENS0_15BLayout_TC_int4ILi4ELi64EEES4_Li8ELi8EEEvPKvS8_S8_Pviiiiii.numbered_sgpr, 19
	.set _ZN2at6native30tinygemm_m16n8k16_chunk_kernelINS0_10ALayout_RMILNS0_14KReductionTypeE0EEENS0_15BLayout_TC_int4ILi4ELi64EEES4_Li8ELi8EEEvPKvS8_S8_Pviiiiii.num_named_barrier, 0
	.set _ZN2at6native30tinygemm_m16n8k16_chunk_kernelINS0_10ALayout_RMILNS0_14KReductionTypeE0EEENS0_15BLayout_TC_int4ILi4ELi64EEES4_Li8ELi8EEEvPKvS8_S8_Pviiiiii.private_seg_size, 0
	.set _ZN2at6native30tinygemm_m16n8k16_chunk_kernelINS0_10ALayout_RMILNS0_14KReductionTypeE0EEENS0_15BLayout_TC_int4ILi4ELi64EEES4_Li8ELi8EEEvPKvS8_S8_Pviiiiii.uses_vcc, 1
	.set _ZN2at6native30tinygemm_m16n8k16_chunk_kernelINS0_10ALayout_RMILNS0_14KReductionTypeE0EEENS0_15BLayout_TC_int4ILi4ELi64EEES4_Li8ELi8EEEvPKvS8_S8_Pviiiiii.uses_flat_scratch, 0
	.set _ZN2at6native30tinygemm_m16n8k16_chunk_kernelINS0_10ALayout_RMILNS0_14KReductionTypeE0EEENS0_15BLayout_TC_int4ILi4ELi64EEES4_Li8ELi8EEEvPKvS8_S8_Pviiiiii.has_dyn_sized_stack, 0
	.set _ZN2at6native30tinygemm_m16n8k16_chunk_kernelINS0_10ALayout_RMILNS0_14KReductionTypeE0EEENS0_15BLayout_TC_int4ILi4ELi64EEES4_Li8ELi8EEEvPKvS8_S8_Pviiiiii.has_recursion, 0
	.set _ZN2at6native30tinygemm_m16n8k16_chunk_kernelINS0_10ALayout_RMILNS0_14KReductionTypeE0EEENS0_15BLayout_TC_int4ILi4ELi64EEES4_Li8ELi8EEEvPKvS8_S8_Pviiiiii.has_indirect_call, 0
	.section	.AMDGPU.csdata,"",@progbits
; Kernel info:
; codeLenInByte = 4752
; TotalNumSgprs: 23
; NumVgprs: 32
; ScratchSize: 0
; MemoryBound: 0
; FloatMode: 240
; IeeeMode: 1
; LDSByteSize: 0 bytes/workgroup (compile time only)
; SGPRBlocks: 2
; VGPRBlocks: 7
; NumSGPRsForWavesPerEU: 23
; NumVGPRsForWavesPerEU: 32
; Occupancy: 8
; WaveLimiterHint : 1
; COMPUTE_PGM_RSRC2:SCRATCH_EN: 0
; COMPUTE_PGM_RSRC2:USER_SGPR: 6
; COMPUTE_PGM_RSRC2:TRAP_HANDLER: 0
; COMPUTE_PGM_RSRC2:TGID_X_EN: 1
; COMPUTE_PGM_RSRC2:TGID_Y_EN: 0
; COMPUTE_PGM_RSRC2:TGID_Z_EN: 0
; COMPUTE_PGM_RSRC2:TIDIG_COMP_CNT: 0
	.section	.text._ZN2at6native30tinygemm_m16n8k16_chunk_kernelINS0_10ALayout_RMILNS0_14KReductionTypeE0EEENS0_15BLayout_TC_int4ILi8ELi64EEES4_Li8ELi8EEEvPKvS8_S8_Pviiiiii,"axG",@progbits,_ZN2at6native30tinygemm_m16n8k16_chunk_kernelINS0_10ALayout_RMILNS0_14KReductionTypeE0EEENS0_15BLayout_TC_int4ILi8ELi64EEES4_Li8ELi8EEEvPKvS8_S8_Pviiiiii,comdat
	.protected	_ZN2at6native30tinygemm_m16n8k16_chunk_kernelINS0_10ALayout_RMILNS0_14KReductionTypeE0EEENS0_15BLayout_TC_int4ILi8ELi64EEES4_Li8ELi8EEEvPKvS8_S8_Pviiiiii ; -- Begin function _ZN2at6native30tinygemm_m16n8k16_chunk_kernelINS0_10ALayout_RMILNS0_14KReductionTypeE0EEENS0_15BLayout_TC_int4ILi8ELi64EEES4_Li8ELi8EEEvPKvS8_S8_Pviiiiii
	.globl	_ZN2at6native30tinygemm_m16n8k16_chunk_kernelINS0_10ALayout_RMILNS0_14KReductionTypeE0EEENS0_15BLayout_TC_int4ILi8ELi64EEES4_Li8ELi8EEEvPKvS8_S8_Pviiiiii
	.p2align	8
	.type	_ZN2at6native30tinygemm_m16n8k16_chunk_kernelINS0_10ALayout_RMILNS0_14KReductionTypeE0EEENS0_15BLayout_TC_int4ILi8ELi64EEES4_Li8ELi8EEEvPKvS8_S8_Pviiiiii,@function
_ZN2at6native30tinygemm_m16n8k16_chunk_kernelINS0_10ALayout_RMILNS0_14KReductionTypeE0EEENS0_15BLayout_TC_int4ILi8ELi64EEES4_Li8ELi8EEEvPKvS8_S8_Pviiiiii: ; @_ZN2at6native30tinygemm_m16n8k16_chunk_kernelINS0_10ALayout_RMILNS0_14KReductionTypeE0EEENS0_15BLayout_TC_int4ILi8ELi64EEES4_Li8ELi8EEEvPKvS8_S8_Pviiiiii
; %bb.0:
	s_load_dwordx2 s[2:3], s[4:5], 0x88
	v_mbcnt_lo_u32_b32 v0, -1, 0
	v_mbcnt_hi_u32_b32 v30, -1, v0
	v_readfirstlane_b32 s0, v30
	v_mov_b32_e32 v5, 0
	v_mov_b32_e32 v6, 0
	v_cmp_eq_u32_e64 s[0:1], s0, v30
	s_and_saveexec_b64 s[4:5], s[0:1]
	s_cbranch_execz .LBB5_6
; %bb.1:
	v_mov_b32_e32 v0, 0
	s_waitcnt lgkmcnt(0)
	global_load_dwordx2 v[3:4], v0, s[2:3] offset:24 glc
	s_waitcnt vmcnt(0)
	buffer_wbinvl1_vol
	global_load_dwordx2 v[1:2], v0, s[2:3] offset:40
	global_load_dwordx2 v[5:6], v0, s[2:3]
	s_waitcnt vmcnt(1)
	v_and_b32_e32 v1, v1, v3
	v_and_b32_e32 v2, v2, v4
	v_mul_lo_u32 v2, v2, 24
	v_mul_hi_u32 v7, v1, 24
	v_mul_lo_u32 v1, v1, 24
	v_add_u32_e32 v2, v7, v2
	s_waitcnt vmcnt(0)
	v_add_co_u32_e32 v1, vcc, v5, v1
	v_addc_co_u32_e32 v2, vcc, v6, v2, vcc
	global_load_dwordx2 v[1:2], v[1:2], off glc
	s_waitcnt vmcnt(0)
	global_atomic_cmpswap_x2 v[5:6], v0, v[1:4], s[2:3] offset:24 glc
	s_waitcnt vmcnt(0)
	buffer_wbinvl1_vol
	v_cmp_ne_u64_e32 vcc, v[5:6], v[3:4]
	s_and_saveexec_b64 s[6:7], vcc
	s_cbranch_execz .LBB5_5
; %bb.2:
	s_mov_b64 s[8:9], 0
.LBB5_3:                                ; =>This Inner Loop Header: Depth=1
	s_sleep 1
	global_load_dwordx2 v[1:2], v0, s[2:3] offset:40
	global_load_dwordx2 v[7:8], v0, s[2:3]
	v_mov_b32_e32 v3, v5
	v_mov_b32_e32 v4, v6
	s_waitcnt vmcnt(1)
	v_and_b32_e32 v1, v1, v3
	s_waitcnt vmcnt(0)
	v_mad_u64_u32 v[5:6], s[10:11], v1, 24, v[7:8]
	v_and_b32_e32 v2, v2, v4
	v_mov_b32_e32 v1, v6
	v_mad_u64_u32 v[1:2], s[10:11], v2, 24, v[1:2]
	v_mov_b32_e32 v6, v1
	global_load_dwordx2 v[1:2], v[5:6], off glc
	s_waitcnt vmcnt(0)
	global_atomic_cmpswap_x2 v[5:6], v0, v[1:4], s[2:3] offset:24 glc
	s_waitcnt vmcnt(0)
	buffer_wbinvl1_vol
	v_cmp_eq_u64_e32 vcc, v[5:6], v[3:4]
	s_or_b64 s[8:9], vcc, s[8:9]
	s_andn2_b64 exec, exec, s[8:9]
	s_cbranch_execnz .LBB5_3
; %bb.4:
	s_or_b64 exec, exec, s[8:9]
.LBB5_5:
	s_or_b64 exec, exec, s[6:7]
.LBB5_6:
	s_or_b64 exec, exec, s[4:5]
	v_mov_b32_e32 v4, 0
	s_waitcnt lgkmcnt(0)
	global_load_dwordx2 v[7:8], v4, s[2:3] offset:40
	global_load_dwordx4 v[0:3], v4, s[2:3]
	v_readfirstlane_b32 s5, v6
	v_readfirstlane_b32 s4, v5
	s_mov_b64 s[6:7], exec
	s_waitcnt vmcnt(1)
	v_readfirstlane_b32 s8, v7
	v_readfirstlane_b32 s9, v8
	s_and_b64 s[8:9], s[8:9], s[4:5]
	s_mul_i32 s10, s9, 24
	s_mul_hi_u32 s11, s8, 24
	s_mul_i32 s12, s8, 24
	s_add_i32 s10, s11, s10
	v_mov_b32_e32 v5, s10
	s_waitcnt vmcnt(0)
	v_add_co_u32_e32 v7, vcc, s12, v0
	v_addc_co_u32_e32 v8, vcc, v1, v5, vcc
	s_and_saveexec_b64 s[10:11], s[0:1]
	s_cbranch_execz .LBB5_8
; %bb.7:
	v_mov_b32_e32 v10, s7
	v_mov_b32_e32 v9, s6
	v_mov_b32_e32 v11, 2
	v_mov_b32_e32 v12, 1
	global_store_dwordx4 v[7:8], v[9:12], off offset:8
.LBB5_8:
	s_or_b64 exec, exec, s[10:11]
	s_lshl_b64 s[6:7], s[8:9], 12
	v_mov_b32_e32 v5, s7
	v_add_co_u32_e32 v2, vcc, s6, v2
	v_addc_co_u32_e32 v11, vcc, v3, v5, vcc
	v_lshlrev_b32_e32 v29, 6, v30
	s_mov_b32 s8, 0
	v_mov_b32_e32 v3, 33
	v_mov_b32_e32 v5, v4
	;; [unrolled: 1-line block ×3, first 2 shown]
	v_readfirstlane_b32 s6, v2
	v_readfirstlane_b32 s7, v11
	v_add_co_u32_e32 v9, vcc, v2, v29
	s_mov_b32 s9, s8
	s_mov_b32 s10, s8
	;; [unrolled: 1-line block ×3, first 2 shown]
	s_nop 0
	global_store_dwordx4 v29, v[3:6], s[6:7]
	v_mov_b32_e32 v2, s8
	v_addc_co_u32_e32 v10, vcc, 0, v11, vcc
	v_mov_b32_e32 v3, s9
	v_mov_b32_e32 v4, s10
	v_mov_b32_e32 v5, s11
	global_store_dwordx4 v29, v[2:5], s[6:7] offset:16
	global_store_dwordx4 v29, v[2:5], s[6:7] offset:32
	;; [unrolled: 1-line block ×3, first 2 shown]
	s_and_saveexec_b64 s[6:7], s[0:1]
	s_cbranch_execz .LBB5_16
; %bb.9:
	v_mov_b32_e32 v6, 0
	global_load_dwordx2 v[13:14], v6, s[2:3] offset:32 glc
	global_load_dwordx2 v[2:3], v6, s[2:3] offset:40
	v_mov_b32_e32 v11, s4
	v_mov_b32_e32 v12, s5
	s_waitcnt vmcnt(0)
	v_and_b32_e32 v2, s4, v2
	v_and_b32_e32 v3, s5, v3
	v_mul_lo_u32 v3, v3, 24
	v_mul_hi_u32 v4, v2, 24
	v_mul_lo_u32 v2, v2, 24
	v_add_u32_e32 v3, v4, v3
	v_add_co_u32_e32 v4, vcc, v0, v2
	v_addc_co_u32_e32 v5, vcc, v1, v3, vcc
	global_store_dwordx2 v[4:5], v[13:14], off
	s_waitcnt vmcnt(0)
	global_atomic_cmpswap_x2 v[2:3], v6, v[11:14], s[2:3] offset:32 glc
	s_waitcnt vmcnt(0)
	v_cmp_ne_u64_e32 vcc, v[2:3], v[13:14]
	s_and_saveexec_b64 s[8:9], vcc
	s_cbranch_execz .LBB5_12
; %bb.10:
	s_mov_b64 s[10:11], 0
.LBB5_11:                               ; =>This Inner Loop Header: Depth=1
	s_sleep 1
	global_store_dwordx2 v[4:5], v[2:3], off
	v_mov_b32_e32 v0, s4
	v_mov_b32_e32 v1, s5
	s_waitcnt vmcnt(0)
	global_atomic_cmpswap_x2 v[0:1], v6, v[0:3], s[2:3] offset:32 glc
	s_waitcnt vmcnt(0)
	v_cmp_eq_u64_e32 vcc, v[0:1], v[2:3]
	v_mov_b32_e32 v3, v1
	s_or_b64 s[10:11], vcc, s[10:11]
	v_mov_b32_e32 v2, v0
	s_andn2_b64 exec, exec, s[10:11]
	s_cbranch_execnz .LBB5_11
.LBB5_12:
	s_or_b64 exec, exec, s[8:9]
	v_mov_b32_e32 v3, 0
	global_load_dwordx2 v[0:1], v3, s[2:3] offset:16
	s_mov_b64 s[8:9], exec
	v_mbcnt_lo_u32_b32 v2, s8, 0
	v_mbcnt_hi_u32_b32 v2, s9, v2
	v_cmp_eq_u32_e32 vcc, 0, v2
	s_and_saveexec_b64 s[10:11], vcc
	s_cbranch_execz .LBB5_14
; %bb.13:
	s_bcnt1_i32_b64 s8, s[8:9]
	v_mov_b32_e32 v2, s8
	s_waitcnt vmcnt(0)
	global_atomic_add_x2 v[0:1], v[2:3], off offset:8
.LBB5_14:
	s_or_b64 exec, exec, s[10:11]
	s_waitcnt vmcnt(0)
	global_load_dwordx2 v[2:3], v[0:1], off offset:16
	s_waitcnt vmcnt(0)
	v_cmp_eq_u64_e32 vcc, 0, v[2:3]
	s_cbranch_vccnz .LBB5_16
; %bb.15:
	global_load_dword v0, v[0:1], off offset:24
	v_mov_b32_e32 v1, 0
	s_waitcnt vmcnt(0)
	v_readfirstlane_b32 s8, v0
	s_and_b32 m0, s8, 0xffffff
	global_store_dwordx2 v[2:3], v[0:1], off
	s_sendmsg sendmsg(MSG_INTERRUPT)
.LBB5_16:
	s_or_b64 exec, exec, s[6:7]
	s_branch .LBB5_20
.LBB5_17:                               ;   in Loop: Header=BB5_20 Depth=1
	s_or_b64 exec, exec, s[6:7]
	v_readfirstlane_b32 s6, v0
	s_cmp_eq_u32 s6, 0
	s_cbranch_scc1 .LBB5_19
; %bb.18:                               ;   in Loop: Header=BB5_20 Depth=1
	s_sleep 1
	s_cbranch_execnz .LBB5_20
	s_branch .LBB5_22
.LBB5_19:
	s_branch .LBB5_22
.LBB5_20:                               ; =>This Inner Loop Header: Depth=1
	v_mov_b32_e32 v0, 1
	s_and_saveexec_b64 s[6:7], s[0:1]
	s_cbranch_execz .LBB5_17
; %bb.21:                               ;   in Loop: Header=BB5_20 Depth=1
	global_load_dword v0, v[7:8], off offset:20 glc
	s_waitcnt vmcnt(0)
	buffer_wbinvl1_vol
	v_and_b32_e32 v0, 1, v0
	s_branch .LBB5_17
.LBB5_22:
	global_load_dwordx2 v[0:1], v[9:10], off
	s_and_saveexec_b64 s[6:7], s[0:1]
	s_cbranch_execz .LBB5_25
; %bb.23:
	v_mov_b32_e32 v8, 0
	global_load_dwordx2 v[2:3], v8, s[2:3] offset:40
	global_load_dwordx2 v[11:12], v8, s[2:3] offset:24 glc
	global_load_dwordx2 v[4:5], v8, s[2:3]
	s_waitcnt vmcnt(2)
	v_readfirstlane_b32 s8, v2
	v_readfirstlane_b32 s9, v3
	s_add_u32 s10, s8, 1
	s_addc_u32 s11, s9, 0
	s_add_u32 s0, s10, s4
	s_addc_u32 s1, s11, s5
	s_cmp_eq_u64 s[0:1], 0
	s_cselect_b32 s1, s11, s1
	s_cselect_b32 s0, s10, s0
	s_and_b64 s[4:5], s[0:1], s[8:9]
	s_mul_i32 s5, s5, 24
	s_mul_hi_u32 s8, s4, 24
	s_mul_i32 s4, s4, 24
	s_add_i32 s5, s8, s5
	v_mov_b32_e32 v2, s5
	s_waitcnt vmcnt(0)
	v_add_co_u32_e32 v6, vcc, s4, v4
	v_addc_co_u32_e32 v7, vcc, v5, v2, vcc
	v_mov_b32_e32 v9, s0
	global_store_dwordx2 v[6:7], v[11:12], off
	v_mov_b32_e32 v10, s1
	s_waitcnt vmcnt(0)
	global_atomic_cmpswap_x2 v[4:5], v8, v[9:12], s[2:3] offset:24 glc
	s_mov_b64 s[4:5], 0
	s_waitcnt vmcnt(0)
	v_cmp_ne_u64_e32 vcc, v[4:5], v[11:12]
	s_and_b64 exec, exec, vcc
	s_cbranch_execz .LBB5_25
.LBB5_24:                               ; =>This Inner Loop Header: Depth=1
	s_sleep 1
	global_store_dwordx2 v[6:7], v[4:5], off
	v_mov_b32_e32 v2, s0
	v_mov_b32_e32 v3, s1
	s_waitcnt vmcnt(0)
	global_atomic_cmpswap_x2 v[2:3], v8, v[2:5], s[2:3] offset:24 glc
	s_waitcnt vmcnt(0)
	v_cmp_eq_u64_e32 vcc, v[2:3], v[4:5]
	v_mov_b32_e32 v5, v3
	s_or_b64 s[4:5], vcc, s[4:5]
	v_mov_b32_e32 v4, v2
	s_andn2_b64 exec, exec, s[4:5]
	s_cbranch_execnz .LBB5_24
.LBB5_25:
	s_or_b64 exec, exec, s[6:7]
	s_getpc_b64 s[4:5]
	s_add_u32 s4, s4, .str@rel32@lo+4
	s_addc_u32 s5, s5, .str@rel32@hi+12
	s_cmp_lg_u64 s[4:5], 0
	s_cselect_b64 s[0:1], -1, 0
	s_cmp_eq_u64 s[4:5], 0
	s_mov_b64 s[4:5], 0
	s_cbranch_scc1 .LBB5_29
; %bb.26:
	v_mov_b32_e32 v2, 0
	s_getpc_b64 s[4:5]
	s_add_u32 s4, s4, .str@rel32@lo+3
	s_addc_u32 s5, s5, .str@rel32@hi+11
.LBB5_27:                               ; =>This Inner Loop Header: Depth=1
	global_load_ubyte v3, v2, s[4:5] offset:1
	s_add_u32 s6, s4, 1
	s_addc_u32 s7, s5, 0
	s_mov_b64 s[4:5], s[6:7]
	s_waitcnt vmcnt(0)
	v_cmp_ne_u32_e32 vcc, 0, v3
	s_cbranch_vccnz .LBB5_27
; %bb.28:
	s_getpc_b64 s[4:5]
	s_add_u32 s4, s4, .str@rel32@lo+4
	s_addc_u32 s5, s5, .str@rel32@hi+12
	s_sub_u32 s4, s6, s4
	s_subb_u32 s5, s7, s5
	s_add_u32 s4, s4, 1
	s_addc_u32 s5, s5, 0
.LBB5_29:
	s_and_b64 vcc, exec, s[0:1]
	s_cbranch_vccz .LBB5_115
; %bb.30:
	s_waitcnt vmcnt(0)
	v_and_b32_e32 v6, -3, v0
	v_mov_b32_e32 v7, v1
	v_mov_b32_e32 v26, 0
	;; [unrolled: 1-line block ×4, first 2 shown]
	s_getpc_b64 s[6:7]
	s_add_u32 s6, s6, .str@rel32@lo+4
	s_addc_u32 s7, s7, .str@rel32@hi+12
	s_branch .LBB5_32
.LBB5_31:                               ;   in Loop: Header=BB5_32 Depth=1
	s_or_b64 exec, exec, s[12:13]
	s_sub_u32 s4, s4, s8
	s_subb_u32 s5, s5, s9
	s_add_u32 s6, s6, s8
	s_addc_u32 s7, s7, s9
	s_cmp_lg_u64 s[4:5], 0
	s_cbranch_scc0 .LBB5_114
.LBB5_32:                               ; =>This Loop Header: Depth=1
                                        ;     Child Loop BB5_35 Depth 2
                                        ;     Child Loop BB5_43 Depth 2
	;; [unrolled: 1-line block ×11, first 2 shown]
	v_cmp_lt_u64_e64 s[0:1], s[4:5], 56
	v_cmp_gt_u64_e64 s[10:11], s[4:5], 7
	s_and_b64 s[0:1], s[0:1], exec
	s_cselect_b32 s9, s5, 0
	s_cselect_b32 s8, s4, 56
	s_add_u32 s0, s6, 8
	s_addc_u32 s1, s7, 0
	s_and_b64 vcc, exec, s[10:11]
	s_cbranch_vccnz .LBB5_36
; %bb.33:                               ;   in Loop: Header=BB5_32 Depth=1
	s_cmp_eq_u64 s[4:5], 0
	s_cbranch_scc1 .LBB5_37
; %bb.34:                               ;   in Loop: Header=BB5_32 Depth=1
	s_waitcnt vmcnt(0)
	v_mov_b32_e32 v8, 0
	s_lshl_b64 s[0:1], s[8:9], 3
	s_mov_b64 s[10:11], 0
	v_mov_b32_e32 v9, 0
	s_mov_b64 s[12:13], s[6:7]
.LBB5_35:                               ;   Parent Loop BB5_32 Depth=1
                                        ; =>  This Inner Loop Header: Depth=2
	global_load_ubyte v2, v26, s[12:13]
	s_waitcnt vmcnt(0)
	v_and_b32_e32 v25, 0xffff, v2
	v_lshlrev_b64 v[2:3], s10, v[25:26]
	s_add_u32 s10, s10, 8
	s_addc_u32 s11, s11, 0
	s_add_u32 s12, s12, 1
	s_addc_u32 s13, s13, 0
	v_or_b32_e32 v8, v2, v8
	s_cmp_lg_u32 s0, s10
	v_or_b32_e32 v9, v3, v9
	s_cbranch_scc1 .LBB5_35
	s_branch .LBB5_38
.LBB5_36:                               ;   in Loop: Header=BB5_32 Depth=1
	s_mov_b32 s14, 0
	s_branch .LBB5_39
.LBB5_37:                               ;   in Loop: Header=BB5_32 Depth=1
	s_waitcnt vmcnt(0)
	v_mov_b32_e32 v8, 0
	v_mov_b32_e32 v9, 0
.LBB5_38:                               ;   in Loop: Header=BB5_32 Depth=1
	s_mov_b64 s[0:1], s[6:7]
	s_mov_b32 s14, 0
	s_cbranch_execnz .LBB5_40
.LBB5_39:                               ;   in Loop: Header=BB5_32 Depth=1
	global_load_dwordx2 v[8:9], v26, s[6:7]
	s_add_i32 s14, s8, -8
.LBB5_40:                               ;   in Loop: Header=BB5_32 Depth=1
	s_add_u32 s10, s0, 8
	s_addc_u32 s11, s1, 0
	s_cmp_gt_u32 s14, 7
	s_cbranch_scc1 .LBB5_44
; %bb.41:                               ;   in Loop: Header=BB5_32 Depth=1
	s_cmp_eq_u32 s14, 0
	s_cbranch_scc1 .LBB5_45
; %bb.42:                               ;   in Loop: Header=BB5_32 Depth=1
	v_mov_b32_e32 v10, 0
	s_mov_b64 s[10:11], 0
	v_mov_b32_e32 v11, 0
	s_mov_b64 s[12:13], 0
.LBB5_43:                               ;   Parent Loop BB5_32 Depth=1
                                        ; =>  This Inner Loop Header: Depth=2
	s_add_u32 s16, s0, s12
	s_addc_u32 s17, s1, s13
	global_load_ubyte v2, v26, s[16:17]
	s_add_u32 s12, s12, 1
	s_addc_u32 s13, s13, 0
	s_waitcnt vmcnt(0)
	v_and_b32_e32 v25, 0xffff, v2
	v_lshlrev_b64 v[2:3], s10, v[25:26]
	s_add_u32 s10, s10, 8
	s_addc_u32 s11, s11, 0
	v_or_b32_e32 v10, v2, v10
	s_cmp_lg_u32 s14, s12
	v_or_b32_e32 v11, v3, v11
	s_cbranch_scc1 .LBB5_43
	s_branch .LBB5_46
.LBB5_44:                               ;   in Loop: Header=BB5_32 Depth=1
                                        ; implicit-def: $vgpr10_vgpr11
	s_mov_b32 s15, 0
	s_branch .LBB5_47
.LBB5_45:                               ;   in Loop: Header=BB5_32 Depth=1
	v_mov_b32_e32 v10, 0
	v_mov_b32_e32 v11, 0
.LBB5_46:                               ;   in Loop: Header=BB5_32 Depth=1
	s_mov_b64 s[10:11], s[0:1]
	s_mov_b32 s15, 0
	s_cbranch_execnz .LBB5_48
.LBB5_47:                               ;   in Loop: Header=BB5_32 Depth=1
	global_load_dwordx2 v[10:11], v26, s[0:1]
	s_add_i32 s15, s14, -8
.LBB5_48:                               ;   in Loop: Header=BB5_32 Depth=1
	s_add_u32 s0, s10, 8
	s_addc_u32 s1, s11, 0
	s_cmp_gt_u32 s15, 7
	s_cbranch_scc1 .LBB5_52
; %bb.49:                               ;   in Loop: Header=BB5_32 Depth=1
	s_cmp_eq_u32 s15, 0
	s_cbranch_scc1 .LBB5_53
; %bb.50:                               ;   in Loop: Header=BB5_32 Depth=1
	v_mov_b32_e32 v12, 0
	s_mov_b64 s[0:1], 0
	v_mov_b32_e32 v13, 0
	s_mov_b64 s[12:13], 0
.LBB5_51:                               ;   Parent Loop BB5_32 Depth=1
                                        ; =>  This Inner Loop Header: Depth=2
	s_add_u32 s16, s10, s12
	s_addc_u32 s17, s11, s13
	global_load_ubyte v2, v26, s[16:17]
	s_add_u32 s12, s12, 1
	s_addc_u32 s13, s13, 0
	s_waitcnt vmcnt(0)
	v_and_b32_e32 v25, 0xffff, v2
	v_lshlrev_b64 v[2:3], s0, v[25:26]
	s_add_u32 s0, s0, 8
	s_addc_u32 s1, s1, 0
	v_or_b32_e32 v12, v2, v12
	s_cmp_lg_u32 s15, s12
	v_or_b32_e32 v13, v3, v13
	s_cbranch_scc1 .LBB5_51
	s_branch .LBB5_54
.LBB5_52:                               ;   in Loop: Header=BB5_32 Depth=1
	s_mov_b32 s14, 0
	s_branch .LBB5_55
.LBB5_53:                               ;   in Loop: Header=BB5_32 Depth=1
	v_mov_b32_e32 v12, 0
	v_mov_b32_e32 v13, 0
.LBB5_54:                               ;   in Loop: Header=BB5_32 Depth=1
	s_mov_b64 s[0:1], s[10:11]
	s_mov_b32 s14, 0
	s_cbranch_execnz .LBB5_56
.LBB5_55:                               ;   in Loop: Header=BB5_32 Depth=1
	global_load_dwordx2 v[12:13], v26, s[10:11]
	s_add_i32 s14, s15, -8
.LBB5_56:                               ;   in Loop: Header=BB5_32 Depth=1
	s_add_u32 s10, s0, 8
	s_addc_u32 s11, s1, 0
	s_cmp_gt_u32 s14, 7
	s_cbranch_scc1 .LBB5_60
; %bb.57:                               ;   in Loop: Header=BB5_32 Depth=1
	s_cmp_eq_u32 s14, 0
	s_cbranch_scc1 .LBB5_61
; %bb.58:                               ;   in Loop: Header=BB5_32 Depth=1
	v_mov_b32_e32 v14, 0
	s_mov_b64 s[10:11], 0
	v_mov_b32_e32 v15, 0
	s_mov_b64 s[12:13], 0
.LBB5_59:                               ;   Parent Loop BB5_32 Depth=1
                                        ; =>  This Inner Loop Header: Depth=2
	s_add_u32 s16, s0, s12
	s_addc_u32 s17, s1, s13
	global_load_ubyte v2, v26, s[16:17]
	s_add_u32 s12, s12, 1
	s_addc_u32 s13, s13, 0
	s_waitcnt vmcnt(0)
	v_and_b32_e32 v25, 0xffff, v2
	v_lshlrev_b64 v[2:3], s10, v[25:26]
	s_add_u32 s10, s10, 8
	s_addc_u32 s11, s11, 0
	v_or_b32_e32 v14, v2, v14
	s_cmp_lg_u32 s14, s12
	v_or_b32_e32 v15, v3, v15
	s_cbranch_scc1 .LBB5_59
	s_branch .LBB5_62
.LBB5_60:                               ;   in Loop: Header=BB5_32 Depth=1
                                        ; implicit-def: $vgpr14_vgpr15
	s_mov_b32 s15, 0
	s_branch .LBB5_63
.LBB5_61:                               ;   in Loop: Header=BB5_32 Depth=1
	v_mov_b32_e32 v14, 0
	v_mov_b32_e32 v15, 0
.LBB5_62:                               ;   in Loop: Header=BB5_32 Depth=1
	s_mov_b64 s[10:11], s[0:1]
	s_mov_b32 s15, 0
	s_cbranch_execnz .LBB5_64
.LBB5_63:                               ;   in Loop: Header=BB5_32 Depth=1
	global_load_dwordx2 v[14:15], v26, s[0:1]
	s_add_i32 s15, s14, -8
.LBB5_64:                               ;   in Loop: Header=BB5_32 Depth=1
	s_add_u32 s0, s10, 8
	s_addc_u32 s1, s11, 0
	s_cmp_gt_u32 s15, 7
	s_cbranch_scc1 .LBB5_68
; %bb.65:                               ;   in Loop: Header=BB5_32 Depth=1
	s_cmp_eq_u32 s15, 0
	s_cbranch_scc1 .LBB5_69
; %bb.66:                               ;   in Loop: Header=BB5_32 Depth=1
	v_mov_b32_e32 v16, 0
	s_mov_b64 s[0:1], 0
	v_mov_b32_e32 v17, 0
	s_mov_b64 s[12:13], 0
.LBB5_67:                               ;   Parent Loop BB5_32 Depth=1
                                        ; =>  This Inner Loop Header: Depth=2
	s_add_u32 s16, s10, s12
	s_addc_u32 s17, s11, s13
	global_load_ubyte v2, v26, s[16:17]
	s_add_u32 s12, s12, 1
	s_addc_u32 s13, s13, 0
	s_waitcnt vmcnt(0)
	v_and_b32_e32 v25, 0xffff, v2
	v_lshlrev_b64 v[2:3], s0, v[25:26]
	s_add_u32 s0, s0, 8
	s_addc_u32 s1, s1, 0
	v_or_b32_e32 v16, v2, v16
	s_cmp_lg_u32 s15, s12
	v_or_b32_e32 v17, v3, v17
	s_cbranch_scc1 .LBB5_67
	s_branch .LBB5_70
.LBB5_68:                               ;   in Loop: Header=BB5_32 Depth=1
	s_mov_b32 s14, 0
	s_branch .LBB5_71
.LBB5_69:                               ;   in Loop: Header=BB5_32 Depth=1
	v_mov_b32_e32 v16, 0
	v_mov_b32_e32 v17, 0
.LBB5_70:                               ;   in Loop: Header=BB5_32 Depth=1
	s_mov_b64 s[0:1], s[10:11]
	s_mov_b32 s14, 0
	s_cbranch_execnz .LBB5_72
.LBB5_71:                               ;   in Loop: Header=BB5_32 Depth=1
	global_load_dwordx2 v[16:17], v26, s[10:11]
	s_add_i32 s14, s15, -8
.LBB5_72:                               ;   in Loop: Header=BB5_32 Depth=1
	s_add_u32 s10, s0, 8
	s_addc_u32 s11, s1, 0
	s_cmp_gt_u32 s14, 7
	s_cbranch_scc1 .LBB5_76
; %bb.73:                               ;   in Loop: Header=BB5_32 Depth=1
	s_cmp_eq_u32 s14, 0
	s_cbranch_scc1 .LBB5_77
; %bb.74:                               ;   in Loop: Header=BB5_32 Depth=1
	v_mov_b32_e32 v18, 0
	s_mov_b64 s[10:11], 0
	v_mov_b32_e32 v19, 0
	s_mov_b64 s[12:13], 0
.LBB5_75:                               ;   Parent Loop BB5_32 Depth=1
                                        ; =>  This Inner Loop Header: Depth=2
	s_add_u32 s16, s0, s12
	s_addc_u32 s17, s1, s13
	global_load_ubyte v2, v26, s[16:17]
	s_add_u32 s12, s12, 1
	s_addc_u32 s13, s13, 0
	s_waitcnt vmcnt(0)
	v_and_b32_e32 v25, 0xffff, v2
	v_lshlrev_b64 v[2:3], s10, v[25:26]
	s_add_u32 s10, s10, 8
	s_addc_u32 s11, s11, 0
	v_or_b32_e32 v18, v2, v18
	s_cmp_lg_u32 s14, s12
	v_or_b32_e32 v19, v3, v19
	s_cbranch_scc1 .LBB5_75
	s_branch .LBB5_78
.LBB5_76:                               ;   in Loop: Header=BB5_32 Depth=1
                                        ; implicit-def: $vgpr18_vgpr19
	s_mov_b32 s15, 0
	s_branch .LBB5_79
.LBB5_77:                               ;   in Loop: Header=BB5_32 Depth=1
	v_mov_b32_e32 v18, 0
	v_mov_b32_e32 v19, 0
.LBB5_78:                               ;   in Loop: Header=BB5_32 Depth=1
	s_mov_b64 s[10:11], s[0:1]
	s_mov_b32 s15, 0
	s_cbranch_execnz .LBB5_80
.LBB5_79:                               ;   in Loop: Header=BB5_32 Depth=1
	global_load_dwordx2 v[18:19], v26, s[0:1]
	s_add_i32 s15, s14, -8
.LBB5_80:                               ;   in Loop: Header=BB5_32 Depth=1
	s_cmp_gt_u32 s15, 7
	s_cbranch_scc1 .LBB5_84
; %bb.81:                               ;   in Loop: Header=BB5_32 Depth=1
	s_cmp_eq_u32 s15, 0
	s_cbranch_scc1 .LBB5_85
; %bb.82:                               ;   in Loop: Header=BB5_32 Depth=1
	v_mov_b32_e32 v20, 0
	s_mov_b64 s[0:1], 0
	v_mov_b32_e32 v21, 0
	s_mov_b64 s[12:13], s[10:11]
.LBB5_83:                               ;   Parent Loop BB5_32 Depth=1
                                        ; =>  This Inner Loop Header: Depth=2
	global_load_ubyte v2, v26, s[12:13]
	s_add_i32 s15, s15, -1
	s_waitcnt vmcnt(0)
	v_and_b32_e32 v25, 0xffff, v2
	v_lshlrev_b64 v[2:3], s0, v[25:26]
	s_add_u32 s0, s0, 8
	s_addc_u32 s1, s1, 0
	s_add_u32 s12, s12, 1
	s_addc_u32 s13, s13, 0
	v_or_b32_e32 v20, v2, v20
	s_cmp_lg_u32 s15, 0
	v_or_b32_e32 v21, v3, v21
	s_cbranch_scc1 .LBB5_83
	s_branch .LBB5_86
.LBB5_84:                               ;   in Loop: Header=BB5_32 Depth=1
	s_branch .LBB5_87
.LBB5_85:                               ;   in Loop: Header=BB5_32 Depth=1
	v_mov_b32_e32 v20, 0
	v_mov_b32_e32 v21, 0
.LBB5_86:                               ;   in Loop: Header=BB5_32 Depth=1
	s_cbranch_execnz .LBB5_88
.LBB5_87:                               ;   in Loop: Header=BB5_32 Depth=1
	global_load_dwordx2 v[20:21], v26, s[10:11]
.LBB5_88:                               ;   in Loop: Header=BB5_32 Depth=1
	v_readfirstlane_b32 s0, v30
	v_mov_b32_e32 v2, 0
	v_mov_b32_e32 v3, 0
	v_cmp_eq_u32_e64 s[0:1], s0, v30
	s_and_saveexec_b64 s[10:11], s[0:1]
	s_cbranch_execz .LBB5_94
; %bb.89:                               ;   in Loop: Header=BB5_32 Depth=1
	global_load_dwordx2 v[24:25], v26, s[2:3] offset:24 glc
	s_waitcnt vmcnt(0)
	buffer_wbinvl1_vol
	global_load_dwordx2 v[2:3], v26, s[2:3] offset:40
	global_load_dwordx2 v[22:23], v26, s[2:3]
	s_waitcnt vmcnt(1)
	v_and_b32_e32 v2, v2, v24
	v_and_b32_e32 v3, v3, v25
	v_mul_lo_u32 v3, v3, 24
	v_mul_hi_u32 v27, v2, 24
	v_mul_lo_u32 v2, v2, 24
	v_add_u32_e32 v3, v27, v3
	s_waitcnt vmcnt(0)
	v_add_co_u32_e32 v2, vcc, v22, v2
	v_addc_co_u32_e32 v3, vcc, v23, v3, vcc
	global_load_dwordx2 v[22:23], v[2:3], off glc
	s_waitcnt vmcnt(0)
	global_atomic_cmpswap_x2 v[2:3], v26, v[22:25], s[2:3] offset:24 glc
	s_waitcnt vmcnt(0)
	buffer_wbinvl1_vol
	v_cmp_ne_u64_e32 vcc, v[2:3], v[24:25]
	s_and_saveexec_b64 s[12:13], vcc
	s_cbranch_execz .LBB5_93
; %bb.90:                               ;   in Loop: Header=BB5_32 Depth=1
	s_mov_b64 s[14:15], 0
.LBB5_91:                               ;   Parent Loop BB5_32 Depth=1
                                        ; =>  This Inner Loop Header: Depth=2
	s_sleep 1
	global_load_dwordx2 v[22:23], v26, s[2:3] offset:40
	global_load_dwordx2 v[27:28], v26, s[2:3]
	v_mov_b32_e32 v25, v3
	v_mov_b32_e32 v24, v2
	s_waitcnt vmcnt(1)
	v_and_b32_e32 v2, v22, v24
	s_waitcnt vmcnt(0)
	v_mad_u64_u32 v[2:3], s[16:17], v2, 24, v[27:28]
	v_and_b32_e32 v22, v23, v25
	v_mad_u64_u32 v[22:23], s[16:17], v22, 24, v[3:4]
	v_mov_b32_e32 v3, v22
	global_load_dwordx2 v[22:23], v[2:3], off glc
	s_waitcnt vmcnt(0)
	global_atomic_cmpswap_x2 v[2:3], v26, v[22:25], s[2:3] offset:24 glc
	s_waitcnt vmcnt(0)
	buffer_wbinvl1_vol
	v_cmp_eq_u64_e32 vcc, v[2:3], v[24:25]
	s_or_b64 s[14:15], vcc, s[14:15]
	s_andn2_b64 exec, exec, s[14:15]
	s_cbranch_execnz .LBB5_91
; %bb.92:                               ;   in Loop: Header=BB5_32 Depth=1
	s_or_b64 exec, exec, s[14:15]
.LBB5_93:                               ;   in Loop: Header=BB5_32 Depth=1
	s_or_b64 exec, exec, s[12:13]
.LBB5_94:                               ;   in Loop: Header=BB5_32 Depth=1
	s_or_b64 exec, exec, s[10:11]
	global_load_dwordx2 v[27:28], v26, s[2:3] offset:40
	global_load_dwordx4 v[22:25], v26, s[2:3]
	v_readfirstlane_b32 s11, v3
	v_readfirstlane_b32 s10, v2
	s_mov_b64 s[12:13], exec
	s_waitcnt vmcnt(1)
	v_readfirstlane_b32 s14, v27
	v_readfirstlane_b32 s15, v28
	s_and_b64 s[14:15], s[14:15], s[10:11]
	s_mul_i32 s16, s15, 24
	s_mul_hi_u32 s17, s14, 24
	s_mul_i32 s18, s14, 24
	s_add_i32 s16, s17, s16
	v_mov_b32_e32 v2, s16
	s_waitcnt vmcnt(0)
	v_add_co_u32_e32 v27, vcc, s18, v22
	v_addc_co_u32_e32 v28, vcc, v23, v2, vcc
	s_and_saveexec_b64 s[16:17], s[0:1]
	s_cbranch_execz .LBB5_96
; %bb.95:                               ;   in Loop: Header=BB5_32 Depth=1
	v_mov_b32_e32 v2, s12
	v_mov_b32_e32 v3, s13
	global_store_dwordx4 v[27:28], v[2:5], off offset:8
.LBB5_96:                               ;   in Loop: Header=BB5_32 Depth=1
	s_or_b64 exec, exec, s[16:17]
	s_lshl_b64 s[12:13], s[14:15], 12
	v_cmp_gt_u64_e64 s[14:15], s[4:5], 56
	v_mov_b32_e32 v2, s13
	v_add_co_u32_e32 v24, vcc, s12, v24
	s_and_b64 s[12:13], s[14:15], exec
	s_cselect_b32 s12, 0, 2
	s_lshl_b32 s13, s8, 2
	v_addc_co_u32_e32 v31, vcc, v25, v2, vcc
	s_add_i32 s13, s13, 28
	v_and_b32_e32 v2, 0xffffff1f, v6
	s_and_b32 s13, s13, 0x1e0
	v_or_b32_e32 v2, s12, v2
	v_or_b32_e32 v6, s13, v2
	v_readfirstlane_b32 s12, v24
	v_readfirstlane_b32 s13, v31
	s_nop 4
	global_store_dwordx4 v29, v[6:9], s[12:13]
	global_store_dwordx4 v29, v[10:13], s[12:13] offset:16
	global_store_dwordx4 v29, v[14:17], s[12:13] offset:32
	;; [unrolled: 1-line block ×3, first 2 shown]
	s_and_saveexec_b64 s[12:13], s[0:1]
	s_cbranch_execz .LBB5_104
; %bb.97:                               ;   in Loop: Header=BB5_32 Depth=1
	global_load_dwordx2 v[10:11], v26, s[2:3] offset:32 glc
	global_load_dwordx2 v[2:3], v26, s[2:3] offset:40
	v_mov_b32_e32 v8, s10
	v_mov_b32_e32 v9, s11
	s_waitcnt vmcnt(0)
	v_readfirstlane_b32 s14, v2
	v_readfirstlane_b32 s15, v3
	s_and_b64 s[14:15], s[14:15], s[10:11]
	s_mul_i32 s15, s15, 24
	s_mul_hi_u32 s16, s14, 24
	s_mul_i32 s14, s14, 24
	s_add_i32 s15, s16, s15
	v_mov_b32_e32 v3, s15
	v_add_co_u32_e32 v2, vcc, s14, v22
	v_addc_co_u32_e32 v3, vcc, v23, v3, vcc
	global_store_dwordx2 v[2:3], v[10:11], off
	s_waitcnt vmcnt(0)
	global_atomic_cmpswap_x2 v[8:9], v26, v[8:11], s[2:3] offset:32 glc
	s_waitcnt vmcnt(0)
	v_cmp_ne_u64_e32 vcc, v[8:9], v[10:11]
	s_and_saveexec_b64 s[14:15], vcc
	s_cbranch_execz .LBB5_100
; %bb.98:                               ;   in Loop: Header=BB5_32 Depth=1
	s_mov_b64 s[16:17], 0
.LBB5_99:                               ;   Parent Loop BB5_32 Depth=1
                                        ; =>  This Inner Loop Header: Depth=2
	s_sleep 1
	global_store_dwordx2 v[2:3], v[8:9], off
	v_mov_b32_e32 v6, s10
	v_mov_b32_e32 v7, s11
	s_waitcnt vmcnt(0)
	global_atomic_cmpswap_x2 v[6:7], v26, v[6:9], s[2:3] offset:32 glc
	s_waitcnt vmcnt(0)
	v_cmp_eq_u64_e32 vcc, v[6:7], v[8:9]
	v_mov_b32_e32 v9, v7
	s_or_b64 s[16:17], vcc, s[16:17]
	v_mov_b32_e32 v8, v6
	s_andn2_b64 exec, exec, s[16:17]
	s_cbranch_execnz .LBB5_99
.LBB5_100:                              ;   in Loop: Header=BB5_32 Depth=1
	s_or_b64 exec, exec, s[14:15]
	global_load_dwordx2 v[2:3], v26, s[2:3] offset:16
	s_mov_b64 s[16:17], exec
	v_mbcnt_lo_u32_b32 v6, s16, 0
	v_mbcnt_hi_u32_b32 v6, s17, v6
	v_cmp_eq_u32_e32 vcc, 0, v6
	s_and_saveexec_b64 s[14:15], vcc
	s_cbranch_execz .LBB5_102
; %bb.101:                              ;   in Loop: Header=BB5_32 Depth=1
	s_bcnt1_i32_b64 s16, s[16:17]
	v_mov_b32_e32 v25, s16
	s_waitcnt vmcnt(0)
	global_atomic_add_x2 v[2:3], v[25:26], off offset:8
.LBB5_102:                              ;   in Loop: Header=BB5_32 Depth=1
	s_or_b64 exec, exec, s[14:15]
	s_waitcnt vmcnt(0)
	global_load_dwordx2 v[6:7], v[2:3], off offset:16
	s_waitcnt vmcnt(0)
	v_cmp_eq_u64_e32 vcc, 0, v[6:7]
	s_cbranch_vccnz .LBB5_104
; %bb.103:                              ;   in Loop: Header=BB5_32 Depth=1
	global_load_dword v25, v[2:3], off offset:24
	s_waitcnt vmcnt(0)
	v_readfirstlane_b32 s14, v25
	s_and_b32 m0, s14, 0xffffff
	global_store_dwordx2 v[6:7], v[25:26], off
	s_sendmsg sendmsg(MSG_INTERRUPT)
.LBB5_104:                              ;   in Loop: Header=BB5_32 Depth=1
	s_or_b64 exec, exec, s[12:13]
	v_add_co_u32_e32 v2, vcc, v24, v29
	v_addc_co_u32_e32 v3, vcc, 0, v31, vcc
	s_branch .LBB5_108
.LBB5_105:                              ;   in Loop: Header=BB5_108 Depth=2
	s_or_b64 exec, exec, s[12:13]
	v_readfirstlane_b32 s12, v6
	s_cmp_eq_u32 s12, 0
	s_cbranch_scc1 .LBB5_107
; %bb.106:                              ;   in Loop: Header=BB5_108 Depth=2
	s_sleep 1
	s_cbranch_execnz .LBB5_108
	s_branch .LBB5_110
.LBB5_107:                              ;   in Loop: Header=BB5_32 Depth=1
	s_branch .LBB5_110
.LBB5_108:                              ;   Parent Loop BB5_32 Depth=1
                                        ; =>  This Inner Loop Header: Depth=2
	v_mov_b32_e32 v6, 1
	s_and_saveexec_b64 s[12:13], s[0:1]
	s_cbranch_execz .LBB5_105
; %bb.109:                              ;   in Loop: Header=BB5_108 Depth=2
	global_load_dword v6, v[27:28], off offset:20 glc
	s_waitcnt vmcnt(0)
	buffer_wbinvl1_vol
	v_and_b32_e32 v6, 1, v6
	s_branch .LBB5_105
.LBB5_110:                              ;   in Loop: Header=BB5_32 Depth=1
	global_load_dwordx4 v[6:9], v[2:3], off
	s_and_saveexec_b64 s[12:13], s[0:1]
	s_cbranch_execz .LBB5_31
; %bb.111:                              ;   in Loop: Header=BB5_32 Depth=1
	global_load_dwordx2 v[2:3], v26, s[2:3] offset:40
	global_load_dwordx2 v[12:13], v26, s[2:3] offset:24 glc
	global_load_dwordx2 v[8:9], v26, s[2:3]
	s_waitcnt vmcnt(2)
	v_readfirstlane_b32 s14, v2
	v_readfirstlane_b32 s15, v3
	s_add_u32 s16, s14, 1
	s_addc_u32 s17, s15, 0
	s_add_u32 s0, s16, s10
	s_addc_u32 s1, s17, s11
	s_cmp_eq_u64 s[0:1], 0
	s_cselect_b32 s1, s17, s1
	s_cselect_b32 s0, s16, s0
	s_and_b64 s[10:11], s[0:1], s[14:15]
	s_mul_i32 s11, s11, 24
	s_mul_hi_u32 s14, s10, 24
	s_mul_i32 s10, s10, 24
	s_add_i32 s11, s14, s11
	v_mov_b32_e32 v3, s11
	s_waitcnt vmcnt(0)
	v_add_co_u32_e32 v2, vcc, s10, v8
	v_addc_co_u32_e32 v3, vcc, v9, v3, vcc
	v_mov_b32_e32 v10, s0
	global_store_dwordx2 v[2:3], v[12:13], off
	v_mov_b32_e32 v11, s1
	s_waitcnt vmcnt(0)
	global_atomic_cmpswap_x2 v[10:11], v26, v[10:13], s[2:3] offset:24 glc
	s_waitcnt vmcnt(0)
	v_cmp_ne_u64_e32 vcc, v[10:11], v[12:13]
	s_and_b64 exec, exec, vcc
	s_cbranch_execz .LBB5_31
; %bb.112:                              ;   in Loop: Header=BB5_32 Depth=1
	s_mov_b64 s[10:11], 0
.LBB5_113:                              ;   Parent Loop BB5_32 Depth=1
                                        ; =>  This Inner Loop Header: Depth=2
	s_sleep 1
	global_store_dwordx2 v[2:3], v[10:11], off
	v_mov_b32_e32 v8, s0
	v_mov_b32_e32 v9, s1
	s_waitcnt vmcnt(0)
	global_atomic_cmpswap_x2 v[8:9], v26, v[8:11], s[2:3] offset:24 glc
	s_waitcnt vmcnt(0)
	v_cmp_eq_u64_e32 vcc, v[8:9], v[10:11]
	v_mov_b32_e32 v11, v9
	s_or_b64 s[10:11], vcc, s[10:11]
	v_mov_b32_e32 v10, v8
	s_andn2_b64 exec, exec, s[10:11]
	s_cbranch_execnz .LBB5_113
	s_branch .LBB5_31
.LBB5_114:
	s_branch .LBB5_141
.LBB5_115:
	s_cbranch_execz .LBB5_141
; %bb.116:
	v_readfirstlane_b32 s0, v30
	s_waitcnt vmcnt(0)
	v_mov_b32_e32 v8, 0
	v_mov_b32_e32 v9, 0
	v_cmp_eq_u32_e64 s[0:1], s0, v30
	s_and_saveexec_b64 s[4:5], s[0:1]
	s_cbranch_execz .LBB5_122
; %bb.117:
	v_mov_b32_e32 v2, 0
	global_load_dwordx2 v[5:6], v2, s[2:3] offset:24 glc
	s_waitcnt vmcnt(0)
	buffer_wbinvl1_vol
	global_load_dwordx2 v[3:4], v2, s[2:3] offset:40
	global_load_dwordx2 v[7:8], v2, s[2:3]
	s_waitcnt vmcnt(1)
	v_and_b32_e32 v3, v3, v5
	v_and_b32_e32 v4, v4, v6
	v_mul_lo_u32 v4, v4, 24
	v_mul_hi_u32 v9, v3, 24
	v_mul_lo_u32 v3, v3, 24
	v_add_u32_e32 v4, v9, v4
	s_waitcnt vmcnt(0)
	v_add_co_u32_e32 v3, vcc, v7, v3
	v_addc_co_u32_e32 v4, vcc, v8, v4, vcc
	global_load_dwordx2 v[3:4], v[3:4], off glc
	s_waitcnt vmcnt(0)
	global_atomic_cmpswap_x2 v[8:9], v2, v[3:6], s[2:3] offset:24 glc
	s_waitcnt vmcnt(0)
	buffer_wbinvl1_vol
	v_cmp_ne_u64_e32 vcc, v[8:9], v[5:6]
	s_and_saveexec_b64 s[6:7], vcc
	s_cbranch_execz .LBB5_121
; %bb.118:
	s_mov_b64 s[8:9], 0
.LBB5_119:                              ; =>This Inner Loop Header: Depth=1
	s_sleep 1
	global_load_dwordx2 v[3:4], v2, s[2:3] offset:40
	global_load_dwordx2 v[10:11], v2, s[2:3]
	v_mov_b32_e32 v5, v8
	v_mov_b32_e32 v6, v9
	s_waitcnt vmcnt(1)
	v_and_b32_e32 v3, v3, v5
	s_waitcnt vmcnt(0)
	v_mad_u64_u32 v[7:8], s[10:11], v3, 24, v[10:11]
	v_and_b32_e32 v4, v4, v6
	v_mov_b32_e32 v3, v8
	v_mad_u64_u32 v[3:4], s[10:11], v4, 24, v[3:4]
	v_mov_b32_e32 v8, v3
	global_load_dwordx2 v[3:4], v[7:8], off glc
	s_waitcnt vmcnt(0)
	global_atomic_cmpswap_x2 v[8:9], v2, v[3:6], s[2:3] offset:24 glc
	s_waitcnt vmcnt(0)
	buffer_wbinvl1_vol
	v_cmp_eq_u64_e32 vcc, v[8:9], v[5:6]
	s_or_b64 s[8:9], vcc, s[8:9]
	s_andn2_b64 exec, exec, s[8:9]
	s_cbranch_execnz .LBB5_119
; %bb.120:
	s_or_b64 exec, exec, s[8:9]
.LBB5_121:
	s_or_b64 exec, exec, s[6:7]
.LBB5_122:
	s_or_b64 exec, exec, s[4:5]
	v_mov_b32_e32 v2, 0
	global_load_dwordx2 v[10:11], v2, s[2:3] offset:40
	global_load_dwordx4 v[4:7], v2, s[2:3]
	v_readfirstlane_b32 s5, v9
	v_readfirstlane_b32 s4, v8
	s_mov_b64 s[6:7], exec
	s_waitcnt vmcnt(1)
	v_readfirstlane_b32 s8, v10
	v_readfirstlane_b32 s9, v11
	s_and_b64 s[8:9], s[8:9], s[4:5]
	s_mul_i32 s10, s9, 24
	s_mul_hi_u32 s11, s8, 24
	s_mul_i32 s12, s8, 24
	s_add_i32 s10, s11, s10
	v_mov_b32_e32 v3, s10
	s_waitcnt vmcnt(0)
	v_add_co_u32_e32 v8, vcc, s12, v4
	v_addc_co_u32_e32 v9, vcc, v5, v3, vcc
	s_and_saveexec_b64 s[10:11], s[0:1]
	s_cbranch_execz .LBB5_124
; %bb.123:
	v_mov_b32_e32 v11, s7
	v_mov_b32_e32 v10, s6
	;; [unrolled: 1-line block ×4, first 2 shown]
	global_store_dwordx4 v[8:9], v[10:13], off offset:8
.LBB5_124:
	s_or_b64 exec, exec, s[10:11]
	s_lshl_b64 s[6:7], s[8:9], 12
	v_mov_b32_e32 v3, s7
	v_add_co_u32_e32 v6, vcc, s6, v6
	v_addc_co_u32_e32 v7, vcc, v7, v3, vcc
	s_movk_i32 s6, 0xff1d
	v_and_or_b32 v0, v0, s6, 34
	s_mov_b32 s8, 0
	v_mov_b32_e32 v3, v2
	v_readfirstlane_b32 s6, v6
	v_readfirstlane_b32 s7, v7
	s_mov_b32 s9, s8
	s_mov_b32 s10, s8
	;; [unrolled: 1-line block ×3, first 2 shown]
	s_nop 1
	global_store_dwordx4 v29, v[0:3], s[6:7]
	s_nop 0
	v_mov_b32_e32 v0, s8
	v_mov_b32_e32 v1, s9
	;; [unrolled: 1-line block ×4, first 2 shown]
	global_store_dwordx4 v29, v[0:3], s[6:7] offset:16
	global_store_dwordx4 v29, v[0:3], s[6:7] offset:32
	;; [unrolled: 1-line block ×3, first 2 shown]
	s_and_saveexec_b64 s[6:7], s[0:1]
	s_cbranch_execz .LBB5_132
; %bb.125:
	v_mov_b32_e32 v6, 0
	global_load_dwordx2 v[12:13], v6, s[2:3] offset:32 glc
	global_load_dwordx2 v[0:1], v6, s[2:3] offset:40
	v_mov_b32_e32 v10, s4
	v_mov_b32_e32 v11, s5
	s_waitcnt vmcnt(0)
	v_readfirstlane_b32 s8, v0
	v_readfirstlane_b32 s9, v1
	s_and_b64 s[8:9], s[8:9], s[4:5]
	s_mul_i32 s9, s9, 24
	s_mul_hi_u32 s10, s8, 24
	s_mul_i32 s8, s8, 24
	s_add_i32 s9, s10, s9
	v_mov_b32_e32 v0, s9
	v_add_co_u32_e32 v4, vcc, s8, v4
	v_addc_co_u32_e32 v5, vcc, v5, v0, vcc
	global_store_dwordx2 v[4:5], v[12:13], off
	s_waitcnt vmcnt(0)
	global_atomic_cmpswap_x2 v[2:3], v6, v[10:13], s[2:3] offset:32 glc
	s_waitcnt vmcnt(0)
	v_cmp_ne_u64_e32 vcc, v[2:3], v[12:13]
	s_and_saveexec_b64 s[8:9], vcc
	s_cbranch_execz .LBB5_128
; %bb.126:
	s_mov_b64 s[10:11], 0
.LBB5_127:                              ; =>This Inner Loop Header: Depth=1
	s_sleep 1
	global_store_dwordx2 v[4:5], v[2:3], off
	v_mov_b32_e32 v0, s4
	v_mov_b32_e32 v1, s5
	s_waitcnt vmcnt(0)
	global_atomic_cmpswap_x2 v[0:1], v6, v[0:3], s[2:3] offset:32 glc
	s_waitcnt vmcnt(0)
	v_cmp_eq_u64_e32 vcc, v[0:1], v[2:3]
	v_mov_b32_e32 v3, v1
	s_or_b64 s[10:11], vcc, s[10:11]
	v_mov_b32_e32 v2, v0
	s_andn2_b64 exec, exec, s[10:11]
	s_cbranch_execnz .LBB5_127
.LBB5_128:
	s_or_b64 exec, exec, s[8:9]
	v_mov_b32_e32 v3, 0
	global_load_dwordx2 v[0:1], v3, s[2:3] offset:16
	s_mov_b64 s[8:9], exec
	v_mbcnt_lo_u32_b32 v2, s8, 0
	v_mbcnt_hi_u32_b32 v2, s9, v2
	v_cmp_eq_u32_e32 vcc, 0, v2
	s_and_saveexec_b64 s[10:11], vcc
	s_cbranch_execz .LBB5_130
; %bb.129:
	s_bcnt1_i32_b64 s8, s[8:9]
	v_mov_b32_e32 v2, s8
	s_waitcnt vmcnt(0)
	global_atomic_add_x2 v[0:1], v[2:3], off offset:8
.LBB5_130:
	s_or_b64 exec, exec, s[10:11]
	s_waitcnt vmcnt(0)
	global_load_dwordx2 v[2:3], v[0:1], off offset:16
	s_waitcnt vmcnt(0)
	v_cmp_eq_u64_e32 vcc, 0, v[2:3]
	s_cbranch_vccnz .LBB5_132
; %bb.131:
	global_load_dword v0, v[0:1], off offset:24
	v_mov_b32_e32 v1, 0
	s_waitcnt vmcnt(0)
	v_readfirstlane_b32 s8, v0
	s_and_b32 m0, s8, 0xffffff
	global_store_dwordx2 v[2:3], v[0:1], off
	s_sendmsg sendmsg(MSG_INTERRUPT)
.LBB5_132:
	s_or_b64 exec, exec, s[6:7]
	s_branch .LBB5_136
.LBB5_133:                              ;   in Loop: Header=BB5_136 Depth=1
	s_or_b64 exec, exec, s[6:7]
	v_readfirstlane_b32 s6, v0
	s_cmp_eq_u32 s6, 0
	s_cbranch_scc1 .LBB5_135
; %bb.134:                              ;   in Loop: Header=BB5_136 Depth=1
	s_sleep 1
	s_cbranch_execnz .LBB5_136
	s_branch .LBB5_138
.LBB5_135:
	s_branch .LBB5_138
.LBB5_136:                              ; =>This Inner Loop Header: Depth=1
	v_mov_b32_e32 v0, 1
	s_and_saveexec_b64 s[6:7], s[0:1]
	s_cbranch_execz .LBB5_133
; %bb.137:                              ;   in Loop: Header=BB5_136 Depth=1
	global_load_dword v0, v[8:9], off offset:20 glc
	s_waitcnt vmcnt(0)
	buffer_wbinvl1_vol
	v_and_b32_e32 v0, 1, v0
	s_branch .LBB5_133
.LBB5_138:
	s_and_saveexec_b64 s[6:7], s[0:1]
	s_cbranch_execz .LBB5_141
; %bb.139:
	v_mov_b32_e32 v6, 0
	global_load_dwordx2 v[0:1], v6, s[2:3] offset:40
	global_load_dwordx2 v[9:10], v6, s[2:3] offset:24 glc
	global_load_dwordx2 v[2:3], v6, s[2:3]
	s_waitcnt vmcnt(2)
	v_readfirstlane_b32 s6, v0
	v_readfirstlane_b32 s7, v1
	s_add_u32 s8, s6, 1
	s_addc_u32 s9, s7, 0
	s_add_u32 s0, s8, s4
	s_addc_u32 s1, s9, s5
	s_cmp_eq_u64 s[0:1], 0
	s_cselect_b32 s1, s9, s1
	s_cselect_b32 s0, s8, s0
	s_and_b64 s[4:5], s[0:1], s[6:7]
	s_mul_i32 s5, s5, 24
	s_mul_hi_u32 s6, s4, 24
	s_mul_i32 s4, s4, 24
	s_add_i32 s5, s6, s5
	v_mov_b32_e32 v0, s5
	s_waitcnt vmcnt(0)
	v_add_co_u32_e32 v4, vcc, s4, v2
	v_addc_co_u32_e32 v5, vcc, v3, v0, vcc
	v_mov_b32_e32 v7, s0
	global_store_dwordx2 v[4:5], v[9:10], off
	v_mov_b32_e32 v8, s1
	s_waitcnt vmcnt(0)
	global_atomic_cmpswap_x2 v[2:3], v6, v[7:10], s[2:3] offset:24 glc
	s_mov_b64 s[4:5], 0
	s_waitcnt vmcnt(0)
	v_cmp_ne_u64_e32 vcc, v[2:3], v[9:10]
	s_and_b64 exec, exec, vcc
	s_cbranch_execz .LBB5_141
.LBB5_140:                              ; =>This Inner Loop Header: Depth=1
	s_sleep 1
	global_store_dwordx2 v[4:5], v[2:3], off
	v_mov_b32_e32 v0, s0
	v_mov_b32_e32 v1, s1
	s_waitcnt vmcnt(0)
	global_atomic_cmpswap_x2 v[0:1], v6, v[0:3], s[2:3] offset:24 glc
	s_waitcnt vmcnt(0)
	v_cmp_eq_u64_e32 vcc, v[0:1], v[2:3]
	v_mov_b32_e32 v3, v1
	s_or_b64 s[4:5], vcc, s[4:5]
	v_mov_b32_e32 v2, v0
	s_andn2_b64 exec, exec, s[4:5]
	s_cbranch_execnz .LBB5_140
.LBB5_141:
	s_endpgm
	.section	.rodata,"a",@progbits
	.p2align	6, 0x0
	.amdhsa_kernel _ZN2at6native30tinygemm_m16n8k16_chunk_kernelINS0_10ALayout_RMILNS0_14KReductionTypeE0EEENS0_15BLayout_TC_int4ILi8ELi64EEES4_Li8ELi8EEEvPKvS8_S8_Pviiiiii
		.amdhsa_group_segment_fixed_size 0
		.amdhsa_private_segment_fixed_size 0
		.amdhsa_kernarg_size 312
		.amdhsa_user_sgpr_count 6
		.amdhsa_user_sgpr_private_segment_buffer 1
		.amdhsa_user_sgpr_dispatch_ptr 0
		.amdhsa_user_sgpr_queue_ptr 0
		.amdhsa_user_sgpr_kernarg_segment_ptr 1
		.amdhsa_user_sgpr_dispatch_id 0
		.amdhsa_user_sgpr_flat_scratch_init 0
		.amdhsa_user_sgpr_private_segment_size 0
		.amdhsa_uses_dynamic_stack 0
		.amdhsa_system_sgpr_private_segment_wavefront_offset 0
		.amdhsa_system_sgpr_workgroup_id_x 1
		.amdhsa_system_sgpr_workgroup_id_y 0
		.amdhsa_system_sgpr_workgroup_id_z 0
		.amdhsa_system_sgpr_workgroup_info 0
		.amdhsa_system_vgpr_workitem_id 0
		.amdhsa_next_free_vgpr 32
		.amdhsa_next_free_sgpr 19
		.amdhsa_reserve_vcc 1
		.amdhsa_reserve_flat_scratch 0
		.amdhsa_float_round_mode_32 0
		.amdhsa_float_round_mode_16_64 0
		.amdhsa_float_denorm_mode_32 3
		.amdhsa_float_denorm_mode_16_64 3
		.amdhsa_dx10_clamp 1
		.amdhsa_ieee_mode 1
		.amdhsa_fp16_overflow 0
		.amdhsa_exception_fp_ieee_invalid_op 0
		.amdhsa_exception_fp_denorm_src 0
		.amdhsa_exception_fp_ieee_div_zero 0
		.amdhsa_exception_fp_ieee_overflow 0
		.amdhsa_exception_fp_ieee_underflow 0
		.amdhsa_exception_fp_ieee_inexact 0
		.amdhsa_exception_int_div_zero 0
	.end_amdhsa_kernel
	.section	.text._ZN2at6native30tinygemm_m16n8k16_chunk_kernelINS0_10ALayout_RMILNS0_14KReductionTypeE0EEENS0_15BLayout_TC_int4ILi8ELi64EEES4_Li8ELi8EEEvPKvS8_S8_Pviiiiii,"axG",@progbits,_ZN2at6native30tinygemm_m16n8k16_chunk_kernelINS0_10ALayout_RMILNS0_14KReductionTypeE0EEENS0_15BLayout_TC_int4ILi8ELi64EEES4_Li8ELi8EEEvPKvS8_S8_Pviiiiii,comdat
.Lfunc_end5:
	.size	_ZN2at6native30tinygemm_m16n8k16_chunk_kernelINS0_10ALayout_RMILNS0_14KReductionTypeE0EEENS0_15BLayout_TC_int4ILi8ELi64EEES4_Li8ELi8EEEvPKvS8_S8_Pviiiiii, .Lfunc_end5-_ZN2at6native30tinygemm_m16n8k16_chunk_kernelINS0_10ALayout_RMILNS0_14KReductionTypeE0EEENS0_15BLayout_TC_int4ILi8ELi64EEES4_Li8ELi8EEEvPKvS8_S8_Pviiiiii
                                        ; -- End function
	.set _ZN2at6native30tinygemm_m16n8k16_chunk_kernelINS0_10ALayout_RMILNS0_14KReductionTypeE0EEENS0_15BLayout_TC_int4ILi8ELi64EEES4_Li8ELi8EEEvPKvS8_S8_Pviiiiii.num_vgpr, 32
	.set _ZN2at6native30tinygemm_m16n8k16_chunk_kernelINS0_10ALayout_RMILNS0_14KReductionTypeE0EEENS0_15BLayout_TC_int4ILi8ELi64EEES4_Li8ELi8EEEvPKvS8_S8_Pviiiiii.num_agpr, 0
	.set _ZN2at6native30tinygemm_m16n8k16_chunk_kernelINS0_10ALayout_RMILNS0_14KReductionTypeE0EEENS0_15BLayout_TC_int4ILi8ELi64EEES4_Li8ELi8EEEvPKvS8_S8_Pviiiiii.numbered_sgpr, 19
	.set _ZN2at6native30tinygemm_m16n8k16_chunk_kernelINS0_10ALayout_RMILNS0_14KReductionTypeE0EEENS0_15BLayout_TC_int4ILi8ELi64EEES4_Li8ELi8EEEvPKvS8_S8_Pviiiiii.num_named_barrier, 0
	.set _ZN2at6native30tinygemm_m16n8k16_chunk_kernelINS0_10ALayout_RMILNS0_14KReductionTypeE0EEENS0_15BLayout_TC_int4ILi8ELi64EEES4_Li8ELi8EEEvPKvS8_S8_Pviiiiii.private_seg_size, 0
	.set _ZN2at6native30tinygemm_m16n8k16_chunk_kernelINS0_10ALayout_RMILNS0_14KReductionTypeE0EEENS0_15BLayout_TC_int4ILi8ELi64EEES4_Li8ELi8EEEvPKvS8_S8_Pviiiiii.uses_vcc, 1
	.set _ZN2at6native30tinygemm_m16n8k16_chunk_kernelINS0_10ALayout_RMILNS0_14KReductionTypeE0EEENS0_15BLayout_TC_int4ILi8ELi64EEES4_Li8ELi8EEEvPKvS8_S8_Pviiiiii.uses_flat_scratch, 0
	.set _ZN2at6native30tinygemm_m16n8k16_chunk_kernelINS0_10ALayout_RMILNS0_14KReductionTypeE0EEENS0_15BLayout_TC_int4ILi8ELi64EEES4_Li8ELi8EEEvPKvS8_S8_Pviiiiii.has_dyn_sized_stack, 0
	.set _ZN2at6native30tinygemm_m16n8k16_chunk_kernelINS0_10ALayout_RMILNS0_14KReductionTypeE0EEENS0_15BLayout_TC_int4ILi8ELi64EEES4_Li8ELi8EEEvPKvS8_S8_Pviiiiii.has_recursion, 0
	.set _ZN2at6native30tinygemm_m16n8k16_chunk_kernelINS0_10ALayout_RMILNS0_14KReductionTypeE0EEENS0_15BLayout_TC_int4ILi8ELi64EEES4_Li8ELi8EEEvPKvS8_S8_Pviiiiii.has_indirect_call, 0
	.section	.AMDGPU.csdata,"",@progbits
; Kernel info:
; codeLenInByte = 4752
; TotalNumSgprs: 23
; NumVgprs: 32
; ScratchSize: 0
; MemoryBound: 0
; FloatMode: 240
; IeeeMode: 1
; LDSByteSize: 0 bytes/workgroup (compile time only)
; SGPRBlocks: 2
; VGPRBlocks: 7
; NumSGPRsForWavesPerEU: 23
; NumVGPRsForWavesPerEU: 32
; Occupancy: 8
; WaveLimiterHint : 1
; COMPUTE_PGM_RSRC2:SCRATCH_EN: 0
; COMPUTE_PGM_RSRC2:USER_SGPR: 6
; COMPUTE_PGM_RSRC2:TRAP_HANDLER: 0
; COMPUTE_PGM_RSRC2:TGID_X_EN: 1
; COMPUTE_PGM_RSRC2:TGID_Y_EN: 0
; COMPUTE_PGM_RSRC2:TGID_Z_EN: 0
; COMPUTE_PGM_RSRC2:TIDIG_COMP_CNT: 0
	.section	.text._ZN2at6native30tinygemm_m16n8k16_chunk_kernelINS0_10ALayout_RMILNS0_14KReductionTypeE0EEENS0_15BLayout_TC_int4ILi2ELi128EEES4_Li8ELi8EEEvPKvS8_S8_Pviiiiii,"axG",@progbits,_ZN2at6native30tinygemm_m16n8k16_chunk_kernelINS0_10ALayout_RMILNS0_14KReductionTypeE0EEENS0_15BLayout_TC_int4ILi2ELi128EEES4_Li8ELi8EEEvPKvS8_S8_Pviiiiii,comdat
	.protected	_ZN2at6native30tinygemm_m16n8k16_chunk_kernelINS0_10ALayout_RMILNS0_14KReductionTypeE0EEENS0_15BLayout_TC_int4ILi2ELi128EEES4_Li8ELi8EEEvPKvS8_S8_Pviiiiii ; -- Begin function _ZN2at6native30tinygemm_m16n8k16_chunk_kernelINS0_10ALayout_RMILNS0_14KReductionTypeE0EEENS0_15BLayout_TC_int4ILi2ELi128EEES4_Li8ELi8EEEvPKvS8_S8_Pviiiiii
	.globl	_ZN2at6native30tinygemm_m16n8k16_chunk_kernelINS0_10ALayout_RMILNS0_14KReductionTypeE0EEENS0_15BLayout_TC_int4ILi2ELi128EEES4_Li8ELi8EEEvPKvS8_S8_Pviiiiii
	.p2align	8
	.type	_ZN2at6native30tinygemm_m16n8k16_chunk_kernelINS0_10ALayout_RMILNS0_14KReductionTypeE0EEENS0_15BLayout_TC_int4ILi2ELi128EEES4_Li8ELi8EEEvPKvS8_S8_Pviiiiii,@function
_ZN2at6native30tinygemm_m16n8k16_chunk_kernelINS0_10ALayout_RMILNS0_14KReductionTypeE0EEENS0_15BLayout_TC_int4ILi2ELi128EEES4_Li8ELi8EEEvPKvS8_S8_Pviiiiii: ; @_ZN2at6native30tinygemm_m16n8k16_chunk_kernelINS0_10ALayout_RMILNS0_14KReductionTypeE0EEENS0_15BLayout_TC_int4ILi2ELi128EEES4_Li8ELi8EEEvPKvS8_S8_Pviiiiii
; %bb.0:
	s_load_dwordx2 s[2:3], s[4:5], 0x88
	v_mbcnt_lo_u32_b32 v0, -1, 0
	v_mbcnt_hi_u32_b32 v30, -1, v0
	v_readfirstlane_b32 s0, v30
	v_mov_b32_e32 v5, 0
	v_mov_b32_e32 v6, 0
	v_cmp_eq_u32_e64 s[0:1], s0, v30
	s_and_saveexec_b64 s[4:5], s[0:1]
	s_cbranch_execz .LBB6_6
; %bb.1:
	v_mov_b32_e32 v0, 0
	s_waitcnt lgkmcnt(0)
	global_load_dwordx2 v[3:4], v0, s[2:3] offset:24 glc
	s_waitcnt vmcnt(0)
	buffer_wbinvl1_vol
	global_load_dwordx2 v[1:2], v0, s[2:3] offset:40
	global_load_dwordx2 v[5:6], v0, s[2:3]
	s_waitcnt vmcnt(1)
	v_and_b32_e32 v1, v1, v3
	v_and_b32_e32 v2, v2, v4
	v_mul_lo_u32 v2, v2, 24
	v_mul_hi_u32 v7, v1, 24
	v_mul_lo_u32 v1, v1, 24
	v_add_u32_e32 v2, v7, v2
	s_waitcnt vmcnt(0)
	v_add_co_u32_e32 v1, vcc, v5, v1
	v_addc_co_u32_e32 v2, vcc, v6, v2, vcc
	global_load_dwordx2 v[1:2], v[1:2], off glc
	s_waitcnt vmcnt(0)
	global_atomic_cmpswap_x2 v[5:6], v0, v[1:4], s[2:3] offset:24 glc
	s_waitcnt vmcnt(0)
	buffer_wbinvl1_vol
	v_cmp_ne_u64_e32 vcc, v[5:6], v[3:4]
	s_and_saveexec_b64 s[6:7], vcc
	s_cbranch_execz .LBB6_5
; %bb.2:
	s_mov_b64 s[8:9], 0
.LBB6_3:                                ; =>This Inner Loop Header: Depth=1
	s_sleep 1
	global_load_dwordx2 v[1:2], v0, s[2:3] offset:40
	global_load_dwordx2 v[7:8], v0, s[2:3]
	v_mov_b32_e32 v3, v5
	v_mov_b32_e32 v4, v6
	s_waitcnt vmcnt(1)
	v_and_b32_e32 v1, v1, v3
	s_waitcnt vmcnt(0)
	v_mad_u64_u32 v[5:6], s[10:11], v1, 24, v[7:8]
	v_and_b32_e32 v2, v2, v4
	v_mov_b32_e32 v1, v6
	v_mad_u64_u32 v[1:2], s[10:11], v2, 24, v[1:2]
	v_mov_b32_e32 v6, v1
	global_load_dwordx2 v[1:2], v[5:6], off glc
	s_waitcnt vmcnt(0)
	global_atomic_cmpswap_x2 v[5:6], v0, v[1:4], s[2:3] offset:24 glc
	s_waitcnt vmcnt(0)
	buffer_wbinvl1_vol
	v_cmp_eq_u64_e32 vcc, v[5:6], v[3:4]
	s_or_b64 s[8:9], vcc, s[8:9]
	s_andn2_b64 exec, exec, s[8:9]
	s_cbranch_execnz .LBB6_3
; %bb.4:
	s_or_b64 exec, exec, s[8:9]
.LBB6_5:
	s_or_b64 exec, exec, s[6:7]
.LBB6_6:
	s_or_b64 exec, exec, s[4:5]
	v_mov_b32_e32 v4, 0
	s_waitcnt lgkmcnt(0)
	global_load_dwordx2 v[7:8], v4, s[2:3] offset:40
	global_load_dwordx4 v[0:3], v4, s[2:3]
	v_readfirstlane_b32 s5, v6
	v_readfirstlane_b32 s4, v5
	s_mov_b64 s[6:7], exec
	s_waitcnt vmcnt(1)
	v_readfirstlane_b32 s8, v7
	v_readfirstlane_b32 s9, v8
	s_and_b64 s[8:9], s[8:9], s[4:5]
	s_mul_i32 s10, s9, 24
	s_mul_hi_u32 s11, s8, 24
	s_mul_i32 s12, s8, 24
	s_add_i32 s10, s11, s10
	v_mov_b32_e32 v5, s10
	s_waitcnt vmcnt(0)
	v_add_co_u32_e32 v7, vcc, s12, v0
	v_addc_co_u32_e32 v8, vcc, v1, v5, vcc
	s_and_saveexec_b64 s[10:11], s[0:1]
	s_cbranch_execz .LBB6_8
; %bb.7:
	v_mov_b32_e32 v10, s7
	v_mov_b32_e32 v9, s6
	;; [unrolled: 1-line block ×4, first 2 shown]
	global_store_dwordx4 v[7:8], v[9:12], off offset:8
.LBB6_8:
	s_or_b64 exec, exec, s[10:11]
	s_lshl_b64 s[6:7], s[8:9], 12
	v_mov_b32_e32 v5, s7
	v_add_co_u32_e32 v2, vcc, s6, v2
	v_addc_co_u32_e32 v11, vcc, v3, v5, vcc
	v_lshlrev_b32_e32 v29, 6, v30
	s_mov_b32 s8, 0
	v_mov_b32_e32 v3, 33
	v_mov_b32_e32 v5, v4
	v_mov_b32_e32 v6, v4
	v_readfirstlane_b32 s6, v2
	v_readfirstlane_b32 s7, v11
	v_add_co_u32_e32 v9, vcc, v2, v29
	s_mov_b32 s9, s8
	s_mov_b32 s10, s8
	;; [unrolled: 1-line block ×3, first 2 shown]
	s_nop 0
	global_store_dwordx4 v29, v[3:6], s[6:7]
	v_mov_b32_e32 v2, s8
	v_addc_co_u32_e32 v10, vcc, 0, v11, vcc
	v_mov_b32_e32 v3, s9
	v_mov_b32_e32 v4, s10
	;; [unrolled: 1-line block ×3, first 2 shown]
	global_store_dwordx4 v29, v[2:5], s[6:7] offset:16
	global_store_dwordx4 v29, v[2:5], s[6:7] offset:32
	;; [unrolled: 1-line block ×3, first 2 shown]
	s_and_saveexec_b64 s[6:7], s[0:1]
	s_cbranch_execz .LBB6_16
; %bb.9:
	v_mov_b32_e32 v6, 0
	global_load_dwordx2 v[13:14], v6, s[2:3] offset:32 glc
	global_load_dwordx2 v[2:3], v6, s[2:3] offset:40
	v_mov_b32_e32 v11, s4
	v_mov_b32_e32 v12, s5
	s_waitcnt vmcnt(0)
	v_and_b32_e32 v2, s4, v2
	v_and_b32_e32 v3, s5, v3
	v_mul_lo_u32 v3, v3, 24
	v_mul_hi_u32 v4, v2, 24
	v_mul_lo_u32 v2, v2, 24
	v_add_u32_e32 v3, v4, v3
	v_add_co_u32_e32 v4, vcc, v0, v2
	v_addc_co_u32_e32 v5, vcc, v1, v3, vcc
	global_store_dwordx2 v[4:5], v[13:14], off
	s_waitcnt vmcnt(0)
	global_atomic_cmpswap_x2 v[2:3], v6, v[11:14], s[2:3] offset:32 glc
	s_waitcnt vmcnt(0)
	v_cmp_ne_u64_e32 vcc, v[2:3], v[13:14]
	s_and_saveexec_b64 s[8:9], vcc
	s_cbranch_execz .LBB6_12
; %bb.10:
	s_mov_b64 s[10:11], 0
.LBB6_11:                               ; =>This Inner Loop Header: Depth=1
	s_sleep 1
	global_store_dwordx2 v[4:5], v[2:3], off
	v_mov_b32_e32 v0, s4
	v_mov_b32_e32 v1, s5
	s_waitcnt vmcnt(0)
	global_atomic_cmpswap_x2 v[0:1], v6, v[0:3], s[2:3] offset:32 glc
	s_waitcnt vmcnt(0)
	v_cmp_eq_u64_e32 vcc, v[0:1], v[2:3]
	v_mov_b32_e32 v3, v1
	s_or_b64 s[10:11], vcc, s[10:11]
	v_mov_b32_e32 v2, v0
	s_andn2_b64 exec, exec, s[10:11]
	s_cbranch_execnz .LBB6_11
.LBB6_12:
	s_or_b64 exec, exec, s[8:9]
	v_mov_b32_e32 v3, 0
	global_load_dwordx2 v[0:1], v3, s[2:3] offset:16
	s_mov_b64 s[8:9], exec
	v_mbcnt_lo_u32_b32 v2, s8, 0
	v_mbcnt_hi_u32_b32 v2, s9, v2
	v_cmp_eq_u32_e32 vcc, 0, v2
	s_and_saveexec_b64 s[10:11], vcc
	s_cbranch_execz .LBB6_14
; %bb.13:
	s_bcnt1_i32_b64 s8, s[8:9]
	v_mov_b32_e32 v2, s8
	s_waitcnt vmcnt(0)
	global_atomic_add_x2 v[0:1], v[2:3], off offset:8
.LBB6_14:
	s_or_b64 exec, exec, s[10:11]
	s_waitcnt vmcnt(0)
	global_load_dwordx2 v[2:3], v[0:1], off offset:16
	s_waitcnt vmcnt(0)
	v_cmp_eq_u64_e32 vcc, 0, v[2:3]
	s_cbranch_vccnz .LBB6_16
; %bb.15:
	global_load_dword v0, v[0:1], off offset:24
	v_mov_b32_e32 v1, 0
	s_waitcnt vmcnt(0)
	v_readfirstlane_b32 s8, v0
	s_and_b32 m0, s8, 0xffffff
	global_store_dwordx2 v[2:3], v[0:1], off
	s_sendmsg sendmsg(MSG_INTERRUPT)
.LBB6_16:
	s_or_b64 exec, exec, s[6:7]
	s_branch .LBB6_20
.LBB6_17:                               ;   in Loop: Header=BB6_20 Depth=1
	s_or_b64 exec, exec, s[6:7]
	v_readfirstlane_b32 s6, v0
	s_cmp_eq_u32 s6, 0
	s_cbranch_scc1 .LBB6_19
; %bb.18:                               ;   in Loop: Header=BB6_20 Depth=1
	s_sleep 1
	s_cbranch_execnz .LBB6_20
	s_branch .LBB6_22
.LBB6_19:
	s_branch .LBB6_22
.LBB6_20:                               ; =>This Inner Loop Header: Depth=1
	v_mov_b32_e32 v0, 1
	s_and_saveexec_b64 s[6:7], s[0:1]
	s_cbranch_execz .LBB6_17
; %bb.21:                               ;   in Loop: Header=BB6_20 Depth=1
	global_load_dword v0, v[7:8], off offset:20 glc
	s_waitcnt vmcnt(0)
	buffer_wbinvl1_vol
	v_and_b32_e32 v0, 1, v0
	s_branch .LBB6_17
.LBB6_22:
	global_load_dwordx2 v[0:1], v[9:10], off
	s_and_saveexec_b64 s[6:7], s[0:1]
	s_cbranch_execz .LBB6_25
; %bb.23:
	v_mov_b32_e32 v8, 0
	global_load_dwordx2 v[2:3], v8, s[2:3] offset:40
	global_load_dwordx2 v[11:12], v8, s[2:3] offset:24 glc
	global_load_dwordx2 v[4:5], v8, s[2:3]
	s_waitcnt vmcnt(2)
	v_readfirstlane_b32 s8, v2
	v_readfirstlane_b32 s9, v3
	s_add_u32 s10, s8, 1
	s_addc_u32 s11, s9, 0
	s_add_u32 s0, s10, s4
	s_addc_u32 s1, s11, s5
	s_cmp_eq_u64 s[0:1], 0
	s_cselect_b32 s1, s11, s1
	s_cselect_b32 s0, s10, s0
	s_and_b64 s[4:5], s[0:1], s[8:9]
	s_mul_i32 s5, s5, 24
	s_mul_hi_u32 s8, s4, 24
	s_mul_i32 s4, s4, 24
	s_add_i32 s5, s8, s5
	v_mov_b32_e32 v2, s5
	s_waitcnt vmcnt(0)
	v_add_co_u32_e32 v6, vcc, s4, v4
	v_addc_co_u32_e32 v7, vcc, v5, v2, vcc
	v_mov_b32_e32 v9, s0
	global_store_dwordx2 v[6:7], v[11:12], off
	v_mov_b32_e32 v10, s1
	s_waitcnt vmcnt(0)
	global_atomic_cmpswap_x2 v[4:5], v8, v[9:12], s[2:3] offset:24 glc
	s_mov_b64 s[4:5], 0
	s_waitcnt vmcnt(0)
	v_cmp_ne_u64_e32 vcc, v[4:5], v[11:12]
	s_and_b64 exec, exec, vcc
	s_cbranch_execz .LBB6_25
.LBB6_24:                               ; =>This Inner Loop Header: Depth=1
	s_sleep 1
	global_store_dwordx2 v[6:7], v[4:5], off
	v_mov_b32_e32 v2, s0
	v_mov_b32_e32 v3, s1
	s_waitcnt vmcnt(0)
	global_atomic_cmpswap_x2 v[2:3], v8, v[2:5], s[2:3] offset:24 glc
	s_waitcnt vmcnt(0)
	v_cmp_eq_u64_e32 vcc, v[2:3], v[4:5]
	v_mov_b32_e32 v5, v3
	s_or_b64 s[4:5], vcc, s[4:5]
	v_mov_b32_e32 v4, v2
	s_andn2_b64 exec, exec, s[4:5]
	s_cbranch_execnz .LBB6_24
.LBB6_25:
	s_or_b64 exec, exec, s[6:7]
	s_getpc_b64 s[4:5]
	s_add_u32 s4, s4, .str@rel32@lo+4
	s_addc_u32 s5, s5, .str@rel32@hi+12
	s_cmp_lg_u64 s[4:5], 0
	s_cselect_b64 s[0:1], -1, 0
	s_cmp_eq_u64 s[4:5], 0
	s_mov_b64 s[4:5], 0
	s_cbranch_scc1 .LBB6_29
; %bb.26:
	v_mov_b32_e32 v2, 0
	s_getpc_b64 s[4:5]
	s_add_u32 s4, s4, .str@rel32@lo+3
	s_addc_u32 s5, s5, .str@rel32@hi+11
.LBB6_27:                               ; =>This Inner Loop Header: Depth=1
	global_load_ubyte v3, v2, s[4:5] offset:1
	s_add_u32 s6, s4, 1
	s_addc_u32 s7, s5, 0
	s_mov_b64 s[4:5], s[6:7]
	s_waitcnt vmcnt(0)
	v_cmp_ne_u32_e32 vcc, 0, v3
	s_cbranch_vccnz .LBB6_27
; %bb.28:
	s_getpc_b64 s[4:5]
	s_add_u32 s4, s4, .str@rel32@lo+4
	s_addc_u32 s5, s5, .str@rel32@hi+12
	s_sub_u32 s4, s6, s4
	s_subb_u32 s5, s7, s5
	s_add_u32 s4, s4, 1
	s_addc_u32 s5, s5, 0
.LBB6_29:
	s_and_b64 vcc, exec, s[0:1]
	s_cbranch_vccz .LBB6_115
; %bb.30:
	s_waitcnt vmcnt(0)
	v_and_b32_e32 v6, -3, v0
	v_mov_b32_e32 v7, v1
	v_mov_b32_e32 v26, 0
	;; [unrolled: 1-line block ×4, first 2 shown]
	s_getpc_b64 s[6:7]
	s_add_u32 s6, s6, .str@rel32@lo+4
	s_addc_u32 s7, s7, .str@rel32@hi+12
	s_branch .LBB6_32
.LBB6_31:                               ;   in Loop: Header=BB6_32 Depth=1
	s_or_b64 exec, exec, s[12:13]
	s_sub_u32 s4, s4, s8
	s_subb_u32 s5, s5, s9
	s_add_u32 s6, s6, s8
	s_addc_u32 s7, s7, s9
	s_cmp_lg_u64 s[4:5], 0
	s_cbranch_scc0 .LBB6_114
.LBB6_32:                               ; =>This Loop Header: Depth=1
                                        ;     Child Loop BB6_35 Depth 2
                                        ;     Child Loop BB6_43 Depth 2
	;; [unrolled: 1-line block ×11, first 2 shown]
	v_cmp_lt_u64_e64 s[0:1], s[4:5], 56
	v_cmp_gt_u64_e64 s[10:11], s[4:5], 7
	s_and_b64 s[0:1], s[0:1], exec
	s_cselect_b32 s9, s5, 0
	s_cselect_b32 s8, s4, 56
	s_add_u32 s0, s6, 8
	s_addc_u32 s1, s7, 0
	s_and_b64 vcc, exec, s[10:11]
	s_cbranch_vccnz .LBB6_36
; %bb.33:                               ;   in Loop: Header=BB6_32 Depth=1
	s_cmp_eq_u64 s[4:5], 0
	s_cbranch_scc1 .LBB6_37
; %bb.34:                               ;   in Loop: Header=BB6_32 Depth=1
	s_waitcnt vmcnt(0)
	v_mov_b32_e32 v8, 0
	s_lshl_b64 s[0:1], s[8:9], 3
	s_mov_b64 s[10:11], 0
	v_mov_b32_e32 v9, 0
	s_mov_b64 s[12:13], s[6:7]
.LBB6_35:                               ;   Parent Loop BB6_32 Depth=1
                                        ; =>  This Inner Loop Header: Depth=2
	global_load_ubyte v2, v26, s[12:13]
	s_waitcnt vmcnt(0)
	v_and_b32_e32 v25, 0xffff, v2
	v_lshlrev_b64 v[2:3], s10, v[25:26]
	s_add_u32 s10, s10, 8
	s_addc_u32 s11, s11, 0
	s_add_u32 s12, s12, 1
	s_addc_u32 s13, s13, 0
	v_or_b32_e32 v8, v2, v8
	s_cmp_lg_u32 s0, s10
	v_or_b32_e32 v9, v3, v9
	s_cbranch_scc1 .LBB6_35
	s_branch .LBB6_38
.LBB6_36:                               ;   in Loop: Header=BB6_32 Depth=1
	s_mov_b32 s14, 0
	s_branch .LBB6_39
.LBB6_37:                               ;   in Loop: Header=BB6_32 Depth=1
	s_waitcnt vmcnt(0)
	v_mov_b32_e32 v8, 0
	v_mov_b32_e32 v9, 0
.LBB6_38:                               ;   in Loop: Header=BB6_32 Depth=1
	s_mov_b64 s[0:1], s[6:7]
	s_mov_b32 s14, 0
	s_cbranch_execnz .LBB6_40
.LBB6_39:                               ;   in Loop: Header=BB6_32 Depth=1
	global_load_dwordx2 v[8:9], v26, s[6:7]
	s_add_i32 s14, s8, -8
.LBB6_40:                               ;   in Loop: Header=BB6_32 Depth=1
	s_add_u32 s10, s0, 8
	s_addc_u32 s11, s1, 0
	s_cmp_gt_u32 s14, 7
	s_cbranch_scc1 .LBB6_44
; %bb.41:                               ;   in Loop: Header=BB6_32 Depth=1
	s_cmp_eq_u32 s14, 0
	s_cbranch_scc1 .LBB6_45
; %bb.42:                               ;   in Loop: Header=BB6_32 Depth=1
	v_mov_b32_e32 v10, 0
	s_mov_b64 s[10:11], 0
	v_mov_b32_e32 v11, 0
	s_mov_b64 s[12:13], 0
.LBB6_43:                               ;   Parent Loop BB6_32 Depth=1
                                        ; =>  This Inner Loop Header: Depth=2
	s_add_u32 s16, s0, s12
	s_addc_u32 s17, s1, s13
	global_load_ubyte v2, v26, s[16:17]
	s_add_u32 s12, s12, 1
	s_addc_u32 s13, s13, 0
	s_waitcnt vmcnt(0)
	v_and_b32_e32 v25, 0xffff, v2
	v_lshlrev_b64 v[2:3], s10, v[25:26]
	s_add_u32 s10, s10, 8
	s_addc_u32 s11, s11, 0
	v_or_b32_e32 v10, v2, v10
	s_cmp_lg_u32 s14, s12
	v_or_b32_e32 v11, v3, v11
	s_cbranch_scc1 .LBB6_43
	s_branch .LBB6_46
.LBB6_44:                               ;   in Loop: Header=BB6_32 Depth=1
                                        ; implicit-def: $vgpr10_vgpr11
	s_mov_b32 s15, 0
	s_branch .LBB6_47
.LBB6_45:                               ;   in Loop: Header=BB6_32 Depth=1
	v_mov_b32_e32 v10, 0
	v_mov_b32_e32 v11, 0
.LBB6_46:                               ;   in Loop: Header=BB6_32 Depth=1
	s_mov_b64 s[10:11], s[0:1]
	s_mov_b32 s15, 0
	s_cbranch_execnz .LBB6_48
.LBB6_47:                               ;   in Loop: Header=BB6_32 Depth=1
	global_load_dwordx2 v[10:11], v26, s[0:1]
	s_add_i32 s15, s14, -8
.LBB6_48:                               ;   in Loop: Header=BB6_32 Depth=1
	s_add_u32 s0, s10, 8
	s_addc_u32 s1, s11, 0
	s_cmp_gt_u32 s15, 7
	s_cbranch_scc1 .LBB6_52
; %bb.49:                               ;   in Loop: Header=BB6_32 Depth=1
	s_cmp_eq_u32 s15, 0
	s_cbranch_scc1 .LBB6_53
; %bb.50:                               ;   in Loop: Header=BB6_32 Depth=1
	v_mov_b32_e32 v12, 0
	s_mov_b64 s[0:1], 0
	v_mov_b32_e32 v13, 0
	s_mov_b64 s[12:13], 0
.LBB6_51:                               ;   Parent Loop BB6_32 Depth=1
                                        ; =>  This Inner Loop Header: Depth=2
	s_add_u32 s16, s10, s12
	s_addc_u32 s17, s11, s13
	global_load_ubyte v2, v26, s[16:17]
	s_add_u32 s12, s12, 1
	s_addc_u32 s13, s13, 0
	s_waitcnt vmcnt(0)
	v_and_b32_e32 v25, 0xffff, v2
	v_lshlrev_b64 v[2:3], s0, v[25:26]
	s_add_u32 s0, s0, 8
	s_addc_u32 s1, s1, 0
	v_or_b32_e32 v12, v2, v12
	s_cmp_lg_u32 s15, s12
	v_or_b32_e32 v13, v3, v13
	s_cbranch_scc1 .LBB6_51
	s_branch .LBB6_54
.LBB6_52:                               ;   in Loop: Header=BB6_32 Depth=1
	s_mov_b32 s14, 0
	s_branch .LBB6_55
.LBB6_53:                               ;   in Loop: Header=BB6_32 Depth=1
	v_mov_b32_e32 v12, 0
	v_mov_b32_e32 v13, 0
.LBB6_54:                               ;   in Loop: Header=BB6_32 Depth=1
	s_mov_b64 s[0:1], s[10:11]
	s_mov_b32 s14, 0
	s_cbranch_execnz .LBB6_56
.LBB6_55:                               ;   in Loop: Header=BB6_32 Depth=1
	global_load_dwordx2 v[12:13], v26, s[10:11]
	s_add_i32 s14, s15, -8
.LBB6_56:                               ;   in Loop: Header=BB6_32 Depth=1
	s_add_u32 s10, s0, 8
	s_addc_u32 s11, s1, 0
	s_cmp_gt_u32 s14, 7
	s_cbranch_scc1 .LBB6_60
; %bb.57:                               ;   in Loop: Header=BB6_32 Depth=1
	s_cmp_eq_u32 s14, 0
	s_cbranch_scc1 .LBB6_61
; %bb.58:                               ;   in Loop: Header=BB6_32 Depth=1
	v_mov_b32_e32 v14, 0
	s_mov_b64 s[10:11], 0
	v_mov_b32_e32 v15, 0
	s_mov_b64 s[12:13], 0
.LBB6_59:                               ;   Parent Loop BB6_32 Depth=1
                                        ; =>  This Inner Loop Header: Depth=2
	s_add_u32 s16, s0, s12
	s_addc_u32 s17, s1, s13
	global_load_ubyte v2, v26, s[16:17]
	s_add_u32 s12, s12, 1
	s_addc_u32 s13, s13, 0
	s_waitcnt vmcnt(0)
	v_and_b32_e32 v25, 0xffff, v2
	v_lshlrev_b64 v[2:3], s10, v[25:26]
	s_add_u32 s10, s10, 8
	s_addc_u32 s11, s11, 0
	v_or_b32_e32 v14, v2, v14
	s_cmp_lg_u32 s14, s12
	v_or_b32_e32 v15, v3, v15
	s_cbranch_scc1 .LBB6_59
	s_branch .LBB6_62
.LBB6_60:                               ;   in Loop: Header=BB6_32 Depth=1
                                        ; implicit-def: $vgpr14_vgpr15
	s_mov_b32 s15, 0
	s_branch .LBB6_63
.LBB6_61:                               ;   in Loop: Header=BB6_32 Depth=1
	v_mov_b32_e32 v14, 0
	v_mov_b32_e32 v15, 0
.LBB6_62:                               ;   in Loop: Header=BB6_32 Depth=1
	s_mov_b64 s[10:11], s[0:1]
	s_mov_b32 s15, 0
	s_cbranch_execnz .LBB6_64
.LBB6_63:                               ;   in Loop: Header=BB6_32 Depth=1
	global_load_dwordx2 v[14:15], v26, s[0:1]
	s_add_i32 s15, s14, -8
.LBB6_64:                               ;   in Loop: Header=BB6_32 Depth=1
	s_add_u32 s0, s10, 8
	s_addc_u32 s1, s11, 0
	s_cmp_gt_u32 s15, 7
	s_cbranch_scc1 .LBB6_68
; %bb.65:                               ;   in Loop: Header=BB6_32 Depth=1
	s_cmp_eq_u32 s15, 0
	s_cbranch_scc1 .LBB6_69
; %bb.66:                               ;   in Loop: Header=BB6_32 Depth=1
	v_mov_b32_e32 v16, 0
	s_mov_b64 s[0:1], 0
	v_mov_b32_e32 v17, 0
	s_mov_b64 s[12:13], 0
.LBB6_67:                               ;   Parent Loop BB6_32 Depth=1
                                        ; =>  This Inner Loop Header: Depth=2
	s_add_u32 s16, s10, s12
	s_addc_u32 s17, s11, s13
	global_load_ubyte v2, v26, s[16:17]
	s_add_u32 s12, s12, 1
	s_addc_u32 s13, s13, 0
	s_waitcnt vmcnt(0)
	v_and_b32_e32 v25, 0xffff, v2
	v_lshlrev_b64 v[2:3], s0, v[25:26]
	s_add_u32 s0, s0, 8
	s_addc_u32 s1, s1, 0
	v_or_b32_e32 v16, v2, v16
	s_cmp_lg_u32 s15, s12
	v_or_b32_e32 v17, v3, v17
	s_cbranch_scc1 .LBB6_67
	s_branch .LBB6_70
.LBB6_68:                               ;   in Loop: Header=BB6_32 Depth=1
	s_mov_b32 s14, 0
	s_branch .LBB6_71
.LBB6_69:                               ;   in Loop: Header=BB6_32 Depth=1
	v_mov_b32_e32 v16, 0
	v_mov_b32_e32 v17, 0
.LBB6_70:                               ;   in Loop: Header=BB6_32 Depth=1
	s_mov_b64 s[0:1], s[10:11]
	s_mov_b32 s14, 0
	s_cbranch_execnz .LBB6_72
.LBB6_71:                               ;   in Loop: Header=BB6_32 Depth=1
	global_load_dwordx2 v[16:17], v26, s[10:11]
	s_add_i32 s14, s15, -8
.LBB6_72:                               ;   in Loop: Header=BB6_32 Depth=1
	s_add_u32 s10, s0, 8
	s_addc_u32 s11, s1, 0
	s_cmp_gt_u32 s14, 7
	s_cbranch_scc1 .LBB6_76
; %bb.73:                               ;   in Loop: Header=BB6_32 Depth=1
	s_cmp_eq_u32 s14, 0
	s_cbranch_scc1 .LBB6_77
; %bb.74:                               ;   in Loop: Header=BB6_32 Depth=1
	v_mov_b32_e32 v18, 0
	s_mov_b64 s[10:11], 0
	v_mov_b32_e32 v19, 0
	s_mov_b64 s[12:13], 0
.LBB6_75:                               ;   Parent Loop BB6_32 Depth=1
                                        ; =>  This Inner Loop Header: Depth=2
	s_add_u32 s16, s0, s12
	s_addc_u32 s17, s1, s13
	global_load_ubyte v2, v26, s[16:17]
	s_add_u32 s12, s12, 1
	s_addc_u32 s13, s13, 0
	s_waitcnt vmcnt(0)
	v_and_b32_e32 v25, 0xffff, v2
	v_lshlrev_b64 v[2:3], s10, v[25:26]
	s_add_u32 s10, s10, 8
	s_addc_u32 s11, s11, 0
	v_or_b32_e32 v18, v2, v18
	s_cmp_lg_u32 s14, s12
	v_or_b32_e32 v19, v3, v19
	s_cbranch_scc1 .LBB6_75
	s_branch .LBB6_78
.LBB6_76:                               ;   in Loop: Header=BB6_32 Depth=1
                                        ; implicit-def: $vgpr18_vgpr19
	s_mov_b32 s15, 0
	s_branch .LBB6_79
.LBB6_77:                               ;   in Loop: Header=BB6_32 Depth=1
	v_mov_b32_e32 v18, 0
	v_mov_b32_e32 v19, 0
.LBB6_78:                               ;   in Loop: Header=BB6_32 Depth=1
	s_mov_b64 s[10:11], s[0:1]
	s_mov_b32 s15, 0
	s_cbranch_execnz .LBB6_80
.LBB6_79:                               ;   in Loop: Header=BB6_32 Depth=1
	global_load_dwordx2 v[18:19], v26, s[0:1]
	s_add_i32 s15, s14, -8
.LBB6_80:                               ;   in Loop: Header=BB6_32 Depth=1
	s_cmp_gt_u32 s15, 7
	s_cbranch_scc1 .LBB6_84
; %bb.81:                               ;   in Loop: Header=BB6_32 Depth=1
	s_cmp_eq_u32 s15, 0
	s_cbranch_scc1 .LBB6_85
; %bb.82:                               ;   in Loop: Header=BB6_32 Depth=1
	v_mov_b32_e32 v20, 0
	s_mov_b64 s[0:1], 0
	v_mov_b32_e32 v21, 0
	s_mov_b64 s[12:13], s[10:11]
.LBB6_83:                               ;   Parent Loop BB6_32 Depth=1
                                        ; =>  This Inner Loop Header: Depth=2
	global_load_ubyte v2, v26, s[12:13]
	s_add_i32 s15, s15, -1
	s_waitcnt vmcnt(0)
	v_and_b32_e32 v25, 0xffff, v2
	v_lshlrev_b64 v[2:3], s0, v[25:26]
	s_add_u32 s0, s0, 8
	s_addc_u32 s1, s1, 0
	s_add_u32 s12, s12, 1
	s_addc_u32 s13, s13, 0
	v_or_b32_e32 v20, v2, v20
	s_cmp_lg_u32 s15, 0
	v_or_b32_e32 v21, v3, v21
	s_cbranch_scc1 .LBB6_83
	s_branch .LBB6_86
.LBB6_84:                               ;   in Loop: Header=BB6_32 Depth=1
	s_branch .LBB6_87
.LBB6_85:                               ;   in Loop: Header=BB6_32 Depth=1
	v_mov_b32_e32 v20, 0
	v_mov_b32_e32 v21, 0
.LBB6_86:                               ;   in Loop: Header=BB6_32 Depth=1
	s_cbranch_execnz .LBB6_88
.LBB6_87:                               ;   in Loop: Header=BB6_32 Depth=1
	global_load_dwordx2 v[20:21], v26, s[10:11]
.LBB6_88:                               ;   in Loop: Header=BB6_32 Depth=1
	v_readfirstlane_b32 s0, v30
	v_mov_b32_e32 v2, 0
	v_mov_b32_e32 v3, 0
	v_cmp_eq_u32_e64 s[0:1], s0, v30
	s_and_saveexec_b64 s[10:11], s[0:1]
	s_cbranch_execz .LBB6_94
; %bb.89:                               ;   in Loop: Header=BB6_32 Depth=1
	global_load_dwordx2 v[24:25], v26, s[2:3] offset:24 glc
	s_waitcnt vmcnt(0)
	buffer_wbinvl1_vol
	global_load_dwordx2 v[2:3], v26, s[2:3] offset:40
	global_load_dwordx2 v[22:23], v26, s[2:3]
	s_waitcnt vmcnt(1)
	v_and_b32_e32 v2, v2, v24
	v_and_b32_e32 v3, v3, v25
	v_mul_lo_u32 v3, v3, 24
	v_mul_hi_u32 v27, v2, 24
	v_mul_lo_u32 v2, v2, 24
	v_add_u32_e32 v3, v27, v3
	s_waitcnt vmcnt(0)
	v_add_co_u32_e32 v2, vcc, v22, v2
	v_addc_co_u32_e32 v3, vcc, v23, v3, vcc
	global_load_dwordx2 v[22:23], v[2:3], off glc
	s_waitcnt vmcnt(0)
	global_atomic_cmpswap_x2 v[2:3], v26, v[22:25], s[2:3] offset:24 glc
	s_waitcnt vmcnt(0)
	buffer_wbinvl1_vol
	v_cmp_ne_u64_e32 vcc, v[2:3], v[24:25]
	s_and_saveexec_b64 s[12:13], vcc
	s_cbranch_execz .LBB6_93
; %bb.90:                               ;   in Loop: Header=BB6_32 Depth=1
	s_mov_b64 s[14:15], 0
.LBB6_91:                               ;   Parent Loop BB6_32 Depth=1
                                        ; =>  This Inner Loop Header: Depth=2
	s_sleep 1
	global_load_dwordx2 v[22:23], v26, s[2:3] offset:40
	global_load_dwordx2 v[27:28], v26, s[2:3]
	v_mov_b32_e32 v25, v3
	v_mov_b32_e32 v24, v2
	s_waitcnt vmcnt(1)
	v_and_b32_e32 v2, v22, v24
	s_waitcnt vmcnt(0)
	v_mad_u64_u32 v[2:3], s[16:17], v2, 24, v[27:28]
	v_and_b32_e32 v22, v23, v25
	v_mad_u64_u32 v[22:23], s[16:17], v22, 24, v[3:4]
	v_mov_b32_e32 v3, v22
	global_load_dwordx2 v[22:23], v[2:3], off glc
	s_waitcnt vmcnt(0)
	global_atomic_cmpswap_x2 v[2:3], v26, v[22:25], s[2:3] offset:24 glc
	s_waitcnt vmcnt(0)
	buffer_wbinvl1_vol
	v_cmp_eq_u64_e32 vcc, v[2:3], v[24:25]
	s_or_b64 s[14:15], vcc, s[14:15]
	s_andn2_b64 exec, exec, s[14:15]
	s_cbranch_execnz .LBB6_91
; %bb.92:                               ;   in Loop: Header=BB6_32 Depth=1
	s_or_b64 exec, exec, s[14:15]
.LBB6_93:                               ;   in Loop: Header=BB6_32 Depth=1
	s_or_b64 exec, exec, s[12:13]
.LBB6_94:                               ;   in Loop: Header=BB6_32 Depth=1
	s_or_b64 exec, exec, s[10:11]
	global_load_dwordx2 v[27:28], v26, s[2:3] offset:40
	global_load_dwordx4 v[22:25], v26, s[2:3]
	v_readfirstlane_b32 s11, v3
	v_readfirstlane_b32 s10, v2
	s_mov_b64 s[12:13], exec
	s_waitcnt vmcnt(1)
	v_readfirstlane_b32 s14, v27
	v_readfirstlane_b32 s15, v28
	s_and_b64 s[14:15], s[14:15], s[10:11]
	s_mul_i32 s16, s15, 24
	s_mul_hi_u32 s17, s14, 24
	s_mul_i32 s18, s14, 24
	s_add_i32 s16, s17, s16
	v_mov_b32_e32 v2, s16
	s_waitcnt vmcnt(0)
	v_add_co_u32_e32 v27, vcc, s18, v22
	v_addc_co_u32_e32 v28, vcc, v23, v2, vcc
	s_and_saveexec_b64 s[16:17], s[0:1]
	s_cbranch_execz .LBB6_96
; %bb.95:                               ;   in Loop: Header=BB6_32 Depth=1
	v_mov_b32_e32 v2, s12
	v_mov_b32_e32 v3, s13
	global_store_dwordx4 v[27:28], v[2:5], off offset:8
.LBB6_96:                               ;   in Loop: Header=BB6_32 Depth=1
	s_or_b64 exec, exec, s[16:17]
	s_lshl_b64 s[12:13], s[14:15], 12
	v_cmp_gt_u64_e64 s[14:15], s[4:5], 56
	v_mov_b32_e32 v2, s13
	v_add_co_u32_e32 v24, vcc, s12, v24
	s_and_b64 s[12:13], s[14:15], exec
	s_cselect_b32 s12, 0, 2
	s_lshl_b32 s13, s8, 2
	v_addc_co_u32_e32 v31, vcc, v25, v2, vcc
	s_add_i32 s13, s13, 28
	v_and_b32_e32 v2, 0xffffff1f, v6
	s_and_b32 s13, s13, 0x1e0
	v_or_b32_e32 v2, s12, v2
	v_or_b32_e32 v6, s13, v2
	v_readfirstlane_b32 s12, v24
	v_readfirstlane_b32 s13, v31
	s_nop 4
	global_store_dwordx4 v29, v[6:9], s[12:13]
	global_store_dwordx4 v29, v[10:13], s[12:13] offset:16
	global_store_dwordx4 v29, v[14:17], s[12:13] offset:32
	;; [unrolled: 1-line block ×3, first 2 shown]
	s_and_saveexec_b64 s[12:13], s[0:1]
	s_cbranch_execz .LBB6_104
; %bb.97:                               ;   in Loop: Header=BB6_32 Depth=1
	global_load_dwordx2 v[10:11], v26, s[2:3] offset:32 glc
	global_load_dwordx2 v[2:3], v26, s[2:3] offset:40
	v_mov_b32_e32 v8, s10
	v_mov_b32_e32 v9, s11
	s_waitcnt vmcnt(0)
	v_readfirstlane_b32 s14, v2
	v_readfirstlane_b32 s15, v3
	s_and_b64 s[14:15], s[14:15], s[10:11]
	s_mul_i32 s15, s15, 24
	s_mul_hi_u32 s16, s14, 24
	s_mul_i32 s14, s14, 24
	s_add_i32 s15, s16, s15
	v_mov_b32_e32 v3, s15
	v_add_co_u32_e32 v2, vcc, s14, v22
	v_addc_co_u32_e32 v3, vcc, v23, v3, vcc
	global_store_dwordx2 v[2:3], v[10:11], off
	s_waitcnt vmcnt(0)
	global_atomic_cmpswap_x2 v[8:9], v26, v[8:11], s[2:3] offset:32 glc
	s_waitcnt vmcnt(0)
	v_cmp_ne_u64_e32 vcc, v[8:9], v[10:11]
	s_and_saveexec_b64 s[14:15], vcc
	s_cbranch_execz .LBB6_100
; %bb.98:                               ;   in Loop: Header=BB6_32 Depth=1
	s_mov_b64 s[16:17], 0
.LBB6_99:                               ;   Parent Loop BB6_32 Depth=1
                                        ; =>  This Inner Loop Header: Depth=2
	s_sleep 1
	global_store_dwordx2 v[2:3], v[8:9], off
	v_mov_b32_e32 v6, s10
	v_mov_b32_e32 v7, s11
	s_waitcnt vmcnt(0)
	global_atomic_cmpswap_x2 v[6:7], v26, v[6:9], s[2:3] offset:32 glc
	s_waitcnt vmcnt(0)
	v_cmp_eq_u64_e32 vcc, v[6:7], v[8:9]
	v_mov_b32_e32 v9, v7
	s_or_b64 s[16:17], vcc, s[16:17]
	v_mov_b32_e32 v8, v6
	s_andn2_b64 exec, exec, s[16:17]
	s_cbranch_execnz .LBB6_99
.LBB6_100:                              ;   in Loop: Header=BB6_32 Depth=1
	s_or_b64 exec, exec, s[14:15]
	global_load_dwordx2 v[2:3], v26, s[2:3] offset:16
	s_mov_b64 s[16:17], exec
	v_mbcnt_lo_u32_b32 v6, s16, 0
	v_mbcnt_hi_u32_b32 v6, s17, v6
	v_cmp_eq_u32_e32 vcc, 0, v6
	s_and_saveexec_b64 s[14:15], vcc
	s_cbranch_execz .LBB6_102
; %bb.101:                              ;   in Loop: Header=BB6_32 Depth=1
	s_bcnt1_i32_b64 s16, s[16:17]
	v_mov_b32_e32 v25, s16
	s_waitcnt vmcnt(0)
	global_atomic_add_x2 v[2:3], v[25:26], off offset:8
.LBB6_102:                              ;   in Loop: Header=BB6_32 Depth=1
	s_or_b64 exec, exec, s[14:15]
	s_waitcnt vmcnt(0)
	global_load_dwordx2 v[6:7], v[2:3], off offset:16
	s_waitcnt vmcnt(0)
	v_cmp_eq_u64_e32 vcc, 0, v[6:7]
	s_cbranch_vccnz .LBB6_104
; %bb.103:                              ;   in Loop: Header=BB6_32 Depth=1
	global_load_dword v25, v[2:3], off offset:24
	s_waitcnt vmcnt(0)
	v_readfirstlane_b32 s14, v25
	s_and_b32 m0, s14, 0xffffff
	global_store_dwordx2 v[6:7], v[25:26], off
	s_sendmsg sendmsg(MSG_INTERRUPT)
.LBB6_104:                              ;   in Loop: Header=BB6_32 Depth=1
	s_or_b64 exec, exec, s[12:13]
	v_add_co_u32_e32 v2, vcc, v24, v29
	v_addc_co_u32_e32 v3, vcc, 0, v31, vcc
	s_branch .LBB6_108
.LBB6_105:                              ;   in Loop: Header=BB6_108 Depth=2
	s_or_b64 exec, exec, s[12:13]
	v_readfirstlane_b32 s12, v6
	s_cmp_eq_u32 s12, 0
	s_cbranch_scc1 .LBB6_107
; %bb.106:                              ;   in Loop: Header=BB6_108 Depth=2
	s_sleep 1
	s_cbranch_execnz .LBB6_108
	s_branch .LBB6_110
.LBB6_107:                              ;   in Loop: Header=BB6_32 Depth=1
	s_branch .LBB6_110
.LBB6_108:                              ;   Parent Loop BB6_32 Depth=1
                                        ; =>  This Inner Loop Header: Depth=2
	v_mov_b32_e32 v6, 1
	s_and_saveexec_b64 s[12:13], s[0:1]
	s_cbranch_execz .LBB6_105
; %bb.109:                              ;   in Loop: Header=BB6_108 Depth=2
	global_load_dword v6, v[27:28], off offset:20 glc
	s_waitcnt vmcnt(0)
	buffer_wbinvl1_vol
	v_and_b32_e32 v6, 1, v6
	s_branch .LBB6_105
.LBB6_110:                              ;   in Loop: Header=BB6_32 Depth=1
	global_load_dwordx4 v[6:9], v[2:3], off
	s_and_saveexec_b64 s[12:13], s[0:1]
	s_cbranch_execz .LBB6_31
; %bb.111:                              ;   in Loop: Header=BB6_32 Depth=1
	global_load_dwordx2 v[2:3], v26, s[2:3] offset:40
	global_load_dwordx2 v[12:13], v26, s[2:3] offset:24 glc
	global_load_dwordx2 v[8:9], v26, s[2:3]
	s_waitcnt vmcnt(2)
	v_readfirstlane_b32 s14, v2
	v_readfirstlane_b32 s15, v3
	s_add_u32 s16, s14, 1
	s_addc_u32 s17, s15, 0
	s_add_u32 s0, s16, s10
	s_addc_u32 s1, s17, s11
	s_cmp_eq_u64 s[0:1], 0
	s_cselect_b32 s1, s17, s1
	s_cselect_b32 s0, s16, s0
	s_and_b64 s[10:11], s[0:1], s[14:15]
	s_mul_i32 s11, s11, 24
	s_mul_hi_u32 s14, s10, 24
	s_mul_i32 s10, s10, 24
	s_add_i32 s11, s14, s11
	v_mov_b32_e32 v3, s11
	s_waitcnt vmcnt(0)
	v_add_co_u32_e32 v2, vcc, s10, v8
	v_addc_co_u32_e32 v3, vcc, v9, v3, vcc
	v_mov_b32_e32 v10, s0
	global_store_dwordx2 v[2:3], v[12:13], off
	v_mov_b32_e32 v11, s1
	s_waitcnt vmcnt(0)
	global_atomic_cmpswap_x2 v[10:11], v26, v[10:13], s[2:3] offset:24 glc
	s_waitcnt vmcnt(0)
	v_cmp_ne_u64_e32 vcc, v[10:11], v[12:13]
	s_and_b64 exec, exec, vcc
	s_cbranch_execz .LBB6_31
; %bb.112:                              ;   in Loop: Header=BB6_32 Depth=1
	s_mov_b64 s[10:11], 0
.LBB6_113:                              ;   Parent Loop BB6_32 Depth=1
                                        ; =>  This Inner Loop Header: Depth=2
	s_sleep 1
	global_store_dwordx2 v[2:3], v[10:11], off
	v_mov_b32_e32 v8, s0
	v_mov_b32_e32 v9, s1
	s_waitcnt vmcnt(0)
	global_atomic_cmpswap_x2 v[8:9], v26, v[8:11], s[2:3] offset:24 glc
	s_waitcnt vmcnt(0)
	v_cmp_eq_u64_e32 vcc, v[8:9], v[10:11]
	v_mov_b32_e32 v11, v9
	s_or_b64 s[10:11], vcc, s[10:11]
	v_mov_b32_e32 v10, v8
	s_andn2_b64 exec, exec, s[10:11]
	s_cbranch_execnz .LBB6_113
	s_branch .LBB6_31
.LBB6_114:
	s_branch .LBB6_141
.LBB6_115:
	s_cbranch_execz .LBB6_141
; %bb.116:
	v_readfirstlane_b32 s0, v30
	s_waitcnt vmcnt(0)
	v_mov_b32_e32 v8, 0
	v_mov_b32_e32 v9, 0
	v_cmp_eq_u32_e64 s[0:1], s0, v30
	s_and_saveexec_b64 s[4:5], s[0:1]
	s_cbranch_execz .LBB6_122
; %bb.117:
	v_mov_b32_e32 v2, 0
	global_load_dwordx2 v[5:6], v2, s[2:3] offset:24 glc
	s_waitcnt vmcnt(0)
	buffer_wbinvl1_vol
	global_load_dwordx2 v[3:4], v2, s[2:3] offset:40
	global_load_dwordx2 v[7:8], v2, s[2:3]
	s_waitcnt vmcnt(1)
	v_and_b32_e32 v3, v3, v5
	v_and_b32_e32 v4, v4, v6
	v_mul_lo_u32 v4, v4, 24
	v_mul_hi_u32 v9, v3, 24
	v_mul_lo_u32 v3, v3, 24
	v_add_u32_e32 v4, v9, v4
	s_waitcnt vmcnt(0)
	v_add_co_u32_e32 v3, vcc, v7, v3
	v_addc_co_u32_e32 v4, vcc, v8, v4, vcc
	global_load_dwordx2 v[3:4], v[3:4], off glc
	s_waitcnt vmcnt(0)
	global_atomic_cmpswap_x2 v[8:9], v2, v[3:6], s[2:3] offset:24 glc
	s_waitcnt vmcnt(0)
	buffer_wbinvl1_vol
	v_cmp_ne_u64_e32 vcc, v[8:9], v[5:6]
	s_and_saveexec_b64 s[6:7], vcc
	s_cbranch_execz .LBB6_121
; %bb.118:
	s_mov_b64 s[8:9], 0
.LBB6_119:                              ; =>This Inner Loop Header: Depth=1
	s_sleep 1
	global_load_dwordx2 v[3:4], v2, s[2:3] offset:40
	global_load_dwordx2 v[10:11], v2, s[2:3]
	v_mov_b32_e32 v5, v8
	v_mov_b32_e32 v6, v9
	s_waitcnt vmcnt(1)
	v_and_b32_e32 v3, v3, v5
	s_waitcnt vmcnt(0)
	v_mad_u64_u32 v[7:8], s[10:11], v3, 24, v[10:11]
	v_and_b32_e32 v4, v4, v6
	v_mov_b32_e32 v3, v8
	v_mad_u64_u32 v[3:4], s[10:11], v4, 24, v[3:4]
	v_mov_b32_e32 v8, v3
	global_load_dwordx2 v[3:4], v[7:8], off glc
	s_waitcnt vmcnt(0)
	global_atomic_cmpswap_x2 v[8:9], v2, v[3:6], s[2:3] offset:24 glc
	s_waitcnt vmcnt(0)
	buffer_wbinvl1_vol
	v_cmp_eq_u64_e32 vcc, v[8:9], v[5:6]
	s_or_b64 s[8:9], vcc, s[8:9]
	s_andn2_b64 exec, exec, s[8:9]
	s_cbranch_execnz .LBB6_119
; %bb.120:
	s_or_b64 exec, exec, s[8:9]
.LBB6_121:
	s_or_b64 exec, exec, s[6:7]
.LBB6_122:
	s_or_b64 exec, exec, s[4:5]
	v_mov_b32_e32 v2, 0
	global_load_dwordx2 v[10:11], v2, s[2:3] offset:40
	global_load_dwordx4 v[4:7], v2, s[2:3]
	v_readfirstlane_b32 s5, v9
	v_readfirstlane_b32 s4, v8
	s_mov_b64 s[6:7], exec
	s_waitcnt vmcnt(1)
	v_readfirstlane_b32 s8, v10
	v_readfirstlane_b32 s9, v11
	s_and_b64 s[8:9], s[8:9], s[4:5]
	s_mul_i32 s10, s9, 24
	s_mul_hi_u32 s11, s8, 24
	s_mul_i32 s12, s8, 24
	s_add_i32 s10, s11, s10
	v_mov_b32_e32 v3, s10
	s_waitcnt vmcnt(0)
	v_add_co_u32_e32 v8, vcc, s12, v4
	v_addc_co_u32_e32 v9, vcc, v5, v3, vcc
	s_and_saveexec_b64 s[10:11], s[0:1]
	s_cbranch_execz .LBB6_124
; %bb.123:
	v_mov_b32_e32 v11, s7
	v_mov_b32_e32 v10, s6
	;; [unrolled: 1-line block ×4, first 2 shown]
	global_store_dwordx4 v[8:9], v[10:13], off offset:8
.LBB6_124:
	s_or_b64 exec, exec, s[10:11]
	s_lshl_b64 s[6:7], s[8:9], 12
	v_mov_b32_e32 v3, s7
	v_add_co_u32_e32 v6, vcc, s6, v6
	v_addc_co_u32_e32 v7, vcc, v7, v3, vcc
	s_movk_i32 s6, 0xff1d
	v_and_or_b32 v0, v0, s6, 34
	s_mov_b32 s8, 0
	v_mov_b32_e32 v3, v2
	v_readfirstlane_b32 s6, v6
	v_readfirstlane_b32 s7, v7
	s_mov_b32 s9, s8
	s_mov_b32 s10, s8
	;; [unrolled: 1-line block ×3, first 2 shown]
	s_nop 1
	global_store_dwordx4 v29, v[0:3], s[6:7]
	s_nop 0
	v_mov_b32_e32 v0, s8
	v_mov_b32_e32 v1, s9
	;; [unrolled: 1-line block ×4, first 2 shown]
	global_store_dwordx4 v29, v[0:3], s[6:7] offset:16
	global_store_dwordx4 v29, v[0:3], s[6:7] offset:32
	;; [unrolled: 1-line block ×3, first 2 shown]
	s_and_saveexec_b64 s[6:7], s[0:1]
	s_cbranch_execz .LBB6_132
; %bb.125:
	v_mov_b32_e32 v6, 0
	global_load_dwordx2 v[12:13], v6, s[2:3] offset:32 glc
	global_load_dwordx2 v[0:1], v6, s[2:3] offset:40
	v_mov_b32_e32 v10, s4
	v_mov_b32_e32 v11, s5
	s_waitcnt vmcnt(0)
	v_readfirstlane_b32 s8, v0
	v_readfirstlane_b32 s9, v1
	s_and_b64 s[8:9], s[8:9], s[4:5]
	s_mul_i32 s9, s9, 24
	s_mul_hi_u32 s10, s8, 24
	s_mul_i32 s8, s8, 24
	s_add_i32 s9, s10, s9
	v_mov_b32_e32 v0, s9
	v_add_co_u32_e32 v4, vcc, s8, v4
	v_addc_co_u32_e32 v5, vcc, v5, v0, vcc
	global_store_dwordx2 v[4:5], v[12:13], off
	s_waitcnt vmcnt(0)
	global_atomic_cmpswap_x2 v[2:3], v6, v[10:13], s[2:3] offset:32 glc
	s_waitcnt vmcnt(0)
	v_cmp_ne_u64_e32 vcc, v[2:3], v[12:13]
	s_and_saveexec_b64 s[8:9], vcc
	s_cbranch_execz .LBB6_128
; %bb.126:
	s_mov_b64 s[10:11], 0
.LBB6_127:                              ; =>This Inner Loop Header: Depth=1
	s_sleep 1
	global_store_dwordx2 v[4:5], v[2:3], off
	v_mov_b32_e32 v0, s4
	v_mov_b32_e32 v1, s5
	s_waitcnt vmcnt(0)
	global_atomic_cmpswap_x2 v[0:1], v6, v[0:3], s[2:3] offset:32 glc
	s_waitcnt vmcnt(0)
	v_cmp_eq_u64_e32 vcc, v[0:1], v[2:3]
	v_mov_b32_e32 v3, v1
	s_or_b64 s[10:11], vcc, s[10:11]
	v_mov_b32_e32 v2, v0
	s_andn2_b64 exec, exec, s[10:11]
	s_cbranch_execnz .LBB6_127
.LBB6_128:
	s_or_b64 exec, exec, s[8:9]
	v_mov_b32_e32 v3, 0
	global_load_dwordx2 v[0:1], v3, s[2:3] offset:16
	s_mov_b64 s[8:9], exec
	v_mbcnt_lo_u32_b32 v2, s8, 0
	v_mbcnt_hi_u32_b32 v2, s9, v2
	v_cmp_eq_u32_e32 vcc, 0, v2
	s_and_saveexec_b64 s[10:11], vcc
	s_cbranch_execz .LBB6_130
; %bb.129:
	s_bcnt1_i32_b64 s8, s[8:9]
	v_mov_b32_e32 v2, s8
	s_waitcnt vmcnt(0)
	global_atomic_add_x2 v[0:1], v[2:3], off offset:8
.LBB6_130:
	s_or_b64 exec, exec, s[10:11]
	s_waitcnt vmcnt(0)
	global_load_dwordx2 v[2:3], v[0:1], off offset:16
	s_waitcnt vmcnt(0)
	v_cmp_eq_u64_e32 vcc, 0, v[2:3]
	s_cbranch_vccnz .LBB6_132
; %bb.131:
	global_load_dword v0, v[0:1], off offset:24
	v_mov_b32_e32 v1, 0
	s_waitcnt vmcnt(0)
	v_readfirstlane_b32 s8, v0
	s_and_b32 m0, s8, 0xffffff
	global_store_dwordx2 v[2:3], v[0:1], off
	s_sendmsg sendmsg(MSG_INTERRUPT)
.LBB6_132:
	s_or_b64 exec, exec, s[6:7]
	s_branch .LBB6_136
.LBB6_133:                              ;   in Loop: Header=BB6_136 Depth=1
	s_or_b64 exec, exec, s[6:7]
	v_readfirstlane_b32 s6, v0
	s_cmp_eq_u32 s6, 0
	s_cbranch_scc1 .LBB6_135
; %bb.134:                              ;   in Loop: Header=BB6_136 Depth=1
	s_sleep 1
	s_cbranch_execnz .LBB6_136
	s_branch .LBB6_138
.LBB6_135:
	s_branch .LBB6_138
.LBB6_136:                              ; =>This Inner Loop Header: Depth=1
	v_mov_b32_e32 v0, 1
	s_and_saveexec_b64 s[6:7], s[0:1]
	s_cbranch_execz .LBB6_133
; %bb.137:                              ;   in Loop: Header=BB6_136 Depth=1
	global_load_dword v0, v[8:9], off offset:20 glc
	s_waitcnt vmcnt(0)
	buffer_wbinvl1_vol
	v_and_b32_e32 v0, 1, v0
	s_branch .LBB6_133
.LBB6_138:
	s_and_saveexec_b64 s[6:7], s[0:1]
	s_cbranch_execz .LBB6_141
; %bb.139:
	v_mov_b32_e32 v6, 0
	global_load_dwordx2 v[0:1], v6, s[2:3] offset:40
	global_load_dwordx2 v[9:10], v6, s[2:3] offset:24 glc
	global_load_dwordx2 v[2:3], v6, s[2:3]
	s_waitcnt vmcnt(2)
	v_readfirstlane_b32 s6, v0
	v_readfirstlane_b32 s7, v1
	s_add_u32 s8, s6, 1
	s_addc_u32 s9, s7, 0
	s_add_u32 s0, s8, s4
	s_addc_u32 s1, s9, s5
	s_cmp_eq_u64 s[0:1], 0
	s_cselect_b32 s1, s9, s1
	s_cselect_b32 s0, s8, s0
	s_and_b64 s[4:5], s[0:1], s[6:7]
	s_mul_i32 s5, s5, 24
	s_mul_hi_u32 s6, s4, 24
	s_mul_i32 s4, s4, 24
	s_add_i32 s5, s6, s5
	v_mov_b32_e32 v0, s5
	s_waitcnt vmcnt(0)
	v_add_co_u32_e32 v4, vcc, s4, v2
	v_addc_co_u32_e32 v5, vcc, v3, v0, vcc
	v_mov_b32_e32 v7, s0
	global_store_dwordx2 v[4:5], v[9:10], off
	v_mov_b32_e32 v8, s1
	s_waitcnt vmcnt(0)
	global_atomic_cmpswap_x2 v[2:3], v6, v[7:10], s[2:3] offset:24 glc
	s_mov_b64 s[4:5], 0
	s_waitcnt vmcnt(0)
	v_cmp_ne_u64_e32 vcc, v[2:3], v[9:10]
	s_and_b64 exec, exec, vcc
	s_cbranch_execz .LBB6_141
.LBB6_140:                              ; =>This Inner Loop Header: Depth=1
	s_sleep 1
	global_store_dwordx2 v[4:5], v[2:3], off
	v_mov_b32_e32 v0, s0
	v_mov_b32_e32 v1, s1
	s_waitcnt vmcnt(0)
	global_atomic_cmpswap_x2 v[0:1], v6, v[0:3], s[2:3] offset:24 glc
	s_waitcnt vmcnt(0)
	v_cmp_eq_u64_e32 vcc, v[0:1], v[2:3]
	v_mov_b32_e32 v3, v1
	s_or_b64 s[4:5], vcc, s[4:5]
	v_mov_b32_e32 v2, v0
	s_andn2_b64 exec, exec, s[4:5]
	s_cbranch_execnz .LBB6_140
.LBB6_141:
	s_endpgm
	.section	.rodata,"a",@progbits
	.p2align	6, 0x0
	.amdhsa_kernel _ZN2at6native30tinygemm_m16n8k16_chunk_kernelINS0_10ALayout_RMILNS0_14KReductionTypeE0EEENS0_15BLayout_TC_int4ILi2ELi128EEES4_Li8ELi8EEEvPKvS8_S8_Pviiiiii
		.amdhsa_group_segment_fixed_size 0
		.amdhsa_private_segment_fixed_size 0
		.amdhsa_kernarg_size 312
		.amdhsa_user_sgpr_count 6
		.amdhsa_user_sgpr_private_segment_buffer 1
		.amdhsa_user_sgpr_dispatch_ptr 0
		.amdhsa_user_sgpr_queue_ptr 0
		.amdhsa_user_sgpr_kernarg_segment_ptr 1
		.amdhsa_user_sgpr_dispatch_id 0
		.amdhsa_user_sgpr_flat_scratch_init 0
		.amdhsa_user_sgpr_private_segment_size 0
		.amdhsa_uses_dynamic_stack 0
		.amdhsa_system_sgpr_private_segment_wavefront_offset 0
		.amdhsa_system_sgpr_workgroup_id_x 1
		.amdhsa_system_sgpr_workgroup_id_y 0
		.amdhsa_system_sgpr_workgroup_id_z 0
		.amdhsa_system_sgpr_workgroup_info 0
		.amdhsa_system_vgpr_workitem_id 0
		.amdhsa_next_free_vgpr 32
		.amdhsa_next_free_sgpr 19
		.amdhsa_reserve_vcc 1
		.amdhsa_reserve_flat_scratch 0
		.amdhsa_float_round_mode_32 0
		.amdhsa_float_round_mode_16_64 0
		.amdhsa_float_denorm_mode_32 3
		.amdhsa_float_denorm_mode_16_64 3
		.amdhsa_dx10_clamp 1
		.amdhsa_ieee_mode 1
		.amdhsa_fp16_overflow 0
		.amdhsa_exception_fp_ieee_invalid_op 0
		.amdhsa_exception_fp_denorm_src 0
		.amdhsa_exception_fp_ieee_div_zero 0
		.amdhsa_exception_fp_ieee_overflow 0
		.amdhsa_exception_fp_ieee_underflow 0
		.amdhsa_exception_fp_ieee_inexact 0
		.amdhsa_exception_int_div_zero 0
	.end_amdhsa_kernel
	.section	.text._ZN2at6native30tinygemm_m16n8k16_chunk_kernelINS0_10ALayout_RMILNS0_14KReductionTypeE0EEENS0_15BLayout_TC_int4ILi2ELi128EEES4_Li8ELi8EEEvPKvS8_S8_Pviiiiii,"axG",@progbits,_ZN2at6native30tinygemm_m16n8k16_chunk_kernelINS0_10ALayout_RMILNS0_14KReductionTypeE0EEENS0_15BLayout_TC_int4ILi2ELi128EEES4_Li8ELi8EEEvPKvS8_S8_Pviiiiii,comdat
.Lfunc_end6:
	.size	_ZN2at6native30tinygemm_m16n8k16_chunk_kernelINS0_10ALayout_RMILNS0_14KReductionTypeE0EEENS0_15BLayout_TC_int4ILi2ELi128EEES4_Li8ELi8EEEvPKvS8_S8_Pviiiiii, .Lfunc_end6-_ZN2at6native30tinygemm_m16n8k16_chunk_kernelINS0_10ALayout_RMILNS0_14KReductionTypeE0EEENS0_15BLayout_TC_int4ILi2ELi128EEES4_Li8ELi8EEEvPKvS8_S8_Pviiiiii
                                        ; -- End function
	.set _ZN2at6native30tinygemm_m16n8k16_chunk_kernelINS0_10ALayout_RMILNS0_14KReductionTypeE0EEENS0_15BLayout_TC_int4ILi2ELi128EEES4_Li8ELi8EEEvPKvS8_S8_Pviiiiii.num_vgpr, 32
	.set _ZN2at6native30tinygemm_m16n8k16_chunk_kernelINS0_10ALayout_RMILNS0_14KReductionTypeE0EEENS0_15BLayout_TC_int4ILi2ELi128EEES4_Li8ELi8EEEvPKvS8_S8_Pviiiiii.num_agpr, 0
	.set _ZN2at6native30tinygemm_m16n8k16_chunk_kernelINS0_10ALayout_RMILNS0_14KReductionTypeE0EEENS0_15BLayout_TC_int4ILi2ELi128EEES4_Li8ELi8EEEvPKvS8_S8_Pviiiiii.numbered_sgpr, 19
	.set _ZN2at6native30tinygemm_m16n8k16_chunk_kernelINS0_10ALayout_RMILNS0_14KReductionTypeE0EEENS0_15BLayout_TC_int4ILi2ELi128EEES4_Li8ELi8EEEvPKvS8_S8_Pviiiiii.num_named_barrier, 0
	.set _ZN2at6native30tinygemm_m16n8k16_chunk_kernelINS0_10ALayout_RMILNS0_14KReductionTypeE0EEENS0_15BLayout_TC_int4ILi2ELi128EEES4_Li8ELi8EEEvPKvS8_S8_Pviiiiii.private_seg_size, 0
	.set _ZN2at6native30tinygemm_m16n8k16_chunk_kernelINS0_10ALayout_RMILNS0_14KReductionTypeE0EEENS0_15BLayout_TC_int4ILi2ELi128EEES4_Li8ELi8EEEvPKvS8_S8_Pviiiiii.uses_vcc, 1
	.set _ZN2at6native30tinygemm_m16n8k16_chunk_kernelINS0_10ALayout_RMILNS0_14KReductionTypeE0EEENS0_15BLayout_TC_int4ILi2ELi128EEES4_Li8ELi8EEEvPKvS8_S8_Pviiiiii.uses_flat_scratch, 0
	.set _ZN2at6native30tinygemm_m16n8k16_chunk_kernelINS0_10ALayout_RMILNS0_14KReductionTypeE0EEENS0_15BLayout_TC_int4ILi2ELi128EEES4_Li8ELi8EEEvPKvS8_S8_Pviiiiii.has_dyn_sized_stack, 0
	.set _ZN2at6native30tinygemm_m16n8k16_chunk_kernelINS0_10ALayout_RMILNS0_14KReductionTypeE0EEENS0_15BLayout_TC_int4ILi2ELi128EEES4_Li8ELi8EEEvPKvS8_S8_Pviiiiii.has_recursion, 0
	.set _ZN2at6native30tinygemm_m16n8k16_chunk_kernelINS0_10ALayout_RMILNS0_14KReductionTypeE0EEENS0_15BLayout_TC_int4ILi2ELi128EEES4_Li8ELi8EEEvPKvS8_S8_Pviiiiii.has_indirect_call, 0
	.section	.AMDGPU.csdata,"",@progbits
; Kernel info:
; codeLenInByte = 4752
; TotalNumSgprs: 23
; NumVgprs: 32
; ScratchSize: 0
; MemoryBound: 0
; FloatMode: 240
; IeeeMode: 1
; LDSByteSize: 0 bytes/workgroup (compile time only)
; SGPRBlocks: 2
; VGPRBlocks: 7
; NumSGPRsForWavesPerEU: 23
; NumVGPRsForWavesPerEU: 32
; Occupancy: 8
; WaveLimiterHint : 1
; COMPUTE_PGM_RSRC2:SCRATCH_EN: 0
; COMPUTE_PGM_RSRC2:USER_SGPR: 6
; COMPUTE_PGM_RSRC2:TRAP_HANDLER: 0
; COMPUTE_PGM_RSRC2:TGID_X_EN: 1
; COMPUTE_PGM_RSRC2:TGID_Y_EN: 0
; COMPUTE_PGM_RSRC2:TGID_Z_EN: 0
; COMPUTE_PGM_RSRC2:TIDIG_COMP_CNT: 0
	.section	.text._ZN2at6native30tinygemm_m16n8k16_chunk_kernelINS0_10ALayout_RMILNS0_14KReductionTypeE0EEENS0_15BLayout_TC_int4ILi4ELi128EEES4_Li8ELi8EEEvPKvS8_S8_Pviiiiii,"axG",@progbits,_ZN2at6native30tinygemm_m16n8k16_chunk_kernelINS0_10ALayout_RMILNS0_14KReductionTypeE0EEENS0_15BLayout_TC_int4ILi4ELi128EEES4_Li8ELi8EEEvPKvS8_S8_Pviiiiii,comdat
	.protected	_ZN2at6native30tinygemm_m16n8k16_chunk_kernelINS0_10ALayout_RMILNS0_14KReductionTypeE0EEENS0_15BLayout_TC_int4ILi4ELi128EEES4_Li8ELi8EEEvPKvS8_S8_Pviiiiii ; -- Begin function _ZN2at6native30tinygemm_m16n8k16_chunk_kernelINS0_10ALayout_RMILNS0_14KReductionTypeE0EEENS0_15BLayout_TC_int4ILi4ELi128EEES4_Li8ELi8EEEvPKvS8_S8_Pviiiiii
	.globl	_ZN2at6native30tinygemm_m16n8k16_chunk_kernelINS0_10ALayout_RMILNS0_14KReductionTypeE0EEENS0_15BLayout_TC_int4ILi4ELi128EEES4_Li8ELi8EEEvPKvS8_S8_Pviiiiii
	.p2align	8
	.type	_ZN2at6native30tinygemm_m16n8k16_chunk_kernelINS0_10ALayout_RMILNS0_14KReductionTypeE0EEENS0_15BLayout_TC_int4ILi4ELi128EEES4_Li8ELi8EEEvPKvS8_S8_Pviiiiii,@function
_ZN2at6native30tinygemm_m16n8k16_chunk_kernelINS0_10ALayout_RMILNS0_14KReductionTypeE0EEENS0_15BLayout_TC_int4ILi4ELi128EEES4_Li8ELi8EEEvPKvS8_S8_Pviiiiii: ; @_ZN2at6native30tinygemm_m16n8k16_chunk_kernelINS0_10ALayout_RMILNS0_14KReductionTypeE0EEENS0_15BLayout_TC_int4ILi4ELi128EEES4_Li8ELi8EEEvPKvS8_S8_Pviiiiii
; %bb.0:
	s_load_dwordx2 s[2:3], s[4:5], 0x88
	v_mbcnt_lo_u32_b32 v0, -1, 0
	v_mbcnt_hi_u32_b32 v30, -1, v0
	v_readfirstlane_b32 s0, v30
	v_mov_b32_e32 v5, 0
	v_mov_b32_e32 v6, 0
	v_cmp_eq_u32_e64 s[0:1], s0, v30
	s_and_saveexec_b64 s[4:5], s[0:1]
	s_cbranch_execz .LBB7_6
; %bb.1:
	v_mov_b32_e32 v0, 0
	s_waitcnt lgkmcnt(0)
	global_load_dwordx2 v[3:4], v0, s[2:3] offset:24 glc
	s_waitcnt vmcnt(0)
	buffer_wbinvl1_vol
	global_load_dwordx2 v[1:2], v0, s[2:3] offset:40
	global_load_dwordx2 v[5:6], v0, s[2:3]
	s_waitcnt vmcnt(1)
	v_and_b32_e32 v1, v1, v3
	v_and_b32_e32 v2, v2, v4
	v_mul_lo_u32 v2, v2, 24
	v_mul_hi_u32 v7, v1, 24
	v_mul_lo_u32 v1, v1, 24
	v_add_u32_e32 v2, v7, v2
	s_waitcnt vmcnt(0)
	v_add_co_u32_e32 v1, vcc, v5, v1
	v_addc_co_u32_e32 v2, vcc, v6, v2, vcc
	global_load_dwordx2 v[1:2], v[1:2], off glc
	s_waitcnt vmcnt(0)
	global_atomic_cmpswap_x2 v[5:6], v0, v[1:4], s[2:3] offset:24 glc
	s_waitcnt vmcnt(0)
	buffer_wbinvl1_vol
	v_cmp_ne_u64_e32 vcc, v[5:6], v[3:4]
	s_and_saveexec_b64 s[6:7], vcc
	s_cbranch_execz .LBB7_5
; %bb.2:
	s_mov_b64 s[8:9], 0
.LBB7_3:                                ; =>This Inner Loop Header: Depth=1
	s_sleep 1
	global_load_dwordx2 v[1:2], v0, s[2:3] offset:40
	global_load_dwordx2 v[7:8], v0, s[2:3]
	v_mov_b32_e32 v3, v5
	v_mov_b32_e32 v4, v6
	s_waitcnt vmcnt(1)
	v_and_b32_e32 v1, v1, v3
	s_waitcnt vmcnt(0)
	v_mad_u64_u32 v[5:6], s[10:11], v1, 24, v[7:8]
	v_and_b32_e32 v2, v2, v4
	v_mov_b32_e32 v1, v6
	v_mad_u64_u32 v[1:2], s[10:11], v2, 24, v[1:2]
	v_mov_b32_e32 v6, v1
	global_load_dwordx2 v[1:2], v[5:6], off glc
	s_waitcnt vmcnt(0)
	global_atomic_cmpswap_x2 v[5:6], v0, v[1:4], s[2:3] offset:24 glc
	s_waitcnt vmcnt(0)
	buffer_wbinvl1_vol
	v_cmp_eq_u64_e32 vcc, v[5:6], v[3:4]
	s_or_b64 s[8:9], vcc, s[8:9]
	s_andn2_b64 exec, exec, s[8:9]
	s_cbranch_execnz .LBB7_3
; %bb.4:
	s_or_b64 exec, exec, s[8:9]
.LBB7_5:
	s_or_b64 exec, exec, s[6:7]
.LBB7_6:
	s_or_b64 exec, exec, s[4:5]
	v_mov_b32_e32 v4, 0
	s_waitcnt lgkmcnt(0)
	global_load_dwordx2 v[7:8], v4, s[2:3] offset:40
	global_load_dwordx4 v[0:3], v4, s[2:3]
	v_readfirstlane_b32 s5, v6
	v_readfirstlane_b32 s4, v5
	s_mov_b64 s[6:7], exec
	s_waitcnt vmcnt(1)
	v_readfirstlane_b32 s8, v7
	v_readfirstlane_b32 s9, v8
	s_and_b64 s[8:9], s[8:9], s[4:5]
	s_mul_i32 s10, s9, 24
	s_mul_hi_u32 s11, s8, 24
	s_mul_i32 s12, s8, 24
	s_add_i32 s10, s11, s10
	v_mov_b32_e32 v5, s10
	s_waitcnt vmcnt(0)
	v_add_co_u32_e32 v7, vcc, s12, v0
	v_addc_co_u32_e32 v8, vcc, v1, v5, vcc
	s_and_saveexec_b64 s[10:11], s[0:1]
	s_cbranch_execz .LBB7_8
; %bb.7:
	v_mov_b32_e32 v10, s7
	v_mov_b32_e32 v9, s6
	;; [unrolled: 1-line block ×4, first 2 shown]
	global_store_dwordx4 v[7:8], v[9:12], off offset:8
.LBB7_8:
	s_or_b64 exec, exec, s[10:11]
	s_lshl_b64 s[6:7], s[8:9], 12
	v_mov_b32_e32 v5, s7
	v_add_co_u32_e32 v2, vcc, s6, v2
	v_addc_co_u32_e32 v11, vcc, v3, v5, vcc
	v_lshlrev_b32_e32 v29, 6, v30
	s_mov_b32 s8, 0
	v_mov_b32_e32 v3, 33
	v_mov_b32_e32 v5, v4
	;; [unrolled: 1-line block ×3, first 2 shown]
	v_readfirstlane_b32 s6, v2
	v_readfirstlane_b32 s7, v11
	v_add_co_u32_e32 v9, vcc, v2, v29
	s_mov_b32 s9, s8
	s_mov_b32 s10, s8
	;; [unrolled: 1-line block ×3, first 2 shown]
	s_nop 0
	global_store_dwordx4 v29, v[3:6], s[6:7]
	v_mov_b32_e32 v2, s8
	v_addc_co_u32_e32 v10, vcc, 0, v11, vcc
	v_mov_b32_e32 v3, s9
	v_mov_b32_e32 v4, s10
	;; [unrolled: 1-line block ×3, first 2 shown]
	global_store_dwordx4 v29, v[2:5], s[6:7] offset:16
	global_store_dwordx4 v29, v[2:5], s[6:7] offset:32
	;; [unrolled: 1-line block ×3, first 2 shown]
	s_and_saveexec_b64 s[6:7], s[0:1]
	s_cbranch_execz .LBB7_16
; %bb.9:
	v_mov_b32_e32 v6, 0
	global_load_dwordx2 v[13:14], v6, s[2:3] offset:32 glc
	global_load_dwordx2 v[2:3], v6, s[2:3] offset:40
	v_mov_b32_e32 v11, s4
	v_mov_b32_e32 v12, s5
	s_waitcnt vmcnt(0)
	v_and_b32_e32 v2, s4, v2
	v_and_b32_e32 v3, s5, v3
	v_mul_lo_u32 v3, v3, 24
	v_mul_hi_u32 v4, v2, 24
	v_mul_lo_u32 v2, v2, 24
	v_add_u32_e32 v3, v4, v3
	v_add_co_u32_e32 v4, vcc, v0, v2
	v_addc_co_u32_e32 v5, vcc, v1, v3, vcc
	global_store_dwordx2 v[4:5], v[13:14], off
	s_waitcnt vmcnt(0)
	global_atomic_cmpswap_x2 v[2:3], v6, v[11:14], s[2:3] offset:32 glc
	s_waitcnt vmcnt(0)
	v_cmp_ne_u64_e32 vcc, v[2:3], v[13:14]
	s_and_saveexec_b64 s[8:9], vcc
	s_cbranch_execz .LBB7_12
; %bb.10:
	s_mov_b64 s[10:11], 0
.LBB7_11:                               ; =>This Inner Loop Header: Depth=1
	s_sleep 1
	global_store_dwordx2 v[4:5], v[2:3], off
	v_mov_b32_e32 v0, s4
	v_mov_b32_e32 v1, s5
	s_waitcnt vmcnt(0)
	global_atomic_cmpswap_x2 v[0:1], v6, v[0:3], s[2:3] offset:32 glc
	s_waitcnt vmcnt(0)
	v_cmp_eq_u64_e32 vcc, v[0:1], v[2:3]
	v_mov_b32_e32 v3, v1
	s_or_b64 s[10:11], vcc, s[10:11]
	v_mov_b32_e32 v2, v0
	s_andn2_b64 exec, exec, s[10:11]
	s_cbranch_execnz .LBB7_11
.LBB7_12:
	s_or_b64 exec, exec, s[8:9]
	v_mov_b32_e32 v3, 0
	global_load_dwordx2 v[0:1], v3, s[2:3] offset:16
	s_mov_b64 s[8:9], exec
	v_mbcnt_lo_u32_b32 v2, s8, 0
	v_mbcnt_hi_u32_b32 v2, s9, v2
	v_cmp_eq_u32_e32 vcc, 0, v2
	s_and_saveexec_b64 s[10:11], vcc
	s_cbranch_execz .LBB7_14
; %bb.13:
	s_bcnt1_i32_b64 s8, s[8:9]
	v_mov_b32_e32 v2, s8
	s_waitcnt vmcnt(0)
	global_atomic_add_x2 v[0:1], v[2:3], off offset:8
.LBB7_14:
	s_or_b64 exec, exec, s[10:11]
	s_waitcnt vmcnt(0)
	global_load_dwordx2 v[2:3], v[0:1], off offset:16
	s_waitcnt vmcnt(0)
	v_cmp_eq_u64_e32 vcc, 0, v[2:3]
	s_cbranch_vccnz .LBB7_16
; %bb.15:
	global_load_dword v0, v[0:1], off offset:24
	v_mov_b32_e32 v1, 0
	s_waitcnt vmcnt(0)
	v_readfirstlane_b32 s8, v0
	s_and_b32 m0, s8, 0xffffff
	global_store_dwordx2 v[2:3], v[0:1], off
	s_sendmsg sendmsg(MSG_INTERRUPT)
.LBB7_16:
	s_or_b64 exec, exec, s[6:7]
	s_branch .LBB7_20
.LBB7_17:                               ;   in Loop: Header=BB7_20 Depth=1
	s_or_b64 exec, exec, s[6:7]
	v_readfirstlane_b32 s6, v0
	s_cmp_eq_u32 s6, 0
	s_cbranch_scc1 .LBB7_19
; %bb.18:                               ;   in Loop: Header=BB7_20 Depth=1
	s_sleep 1
	s_cbranch_execnz .LBB7_20
	s_branch .LBB7_22
.LBB7_19:
	s_branch .LBB7_22
.LBB7_20:                               ; =>This Inner Loop Header: Depth=1
	v_mov_b32_e32 v0, 1
	s_and_saveexec_b64 s[6:7], s[0:1]
	s_cbranch_execz .LBB7_17
; %bb.21:                               ;   in Loop: Header=BB7_20 Depth=1
	global_load_dword v0, v[7:8], off offset:20 glc
	s_waitcnt vmcnt(0)
	buffer_wbinvl1_vol
	v_and_b32_e32 v0, 1, v0
	s_branch .LBB7_17
.LBB7_22:
	global_load_dwordx2 v[0:1], v[9:10], off
	s_and_saveexec_b64 s[6:7], s[0:1]
	s_cbranch_execz .LBB7_25
; %bb.23:
	v_mov_b32_e32 v8, 0
	global_load_dwordx2 v[2:3], v8, s[2:3] offset:40
	global_load_dwordx2 v[11:12], v8, s[2:3] offset:24 glc
	global_load_dwordx2 v[4:5], v8, s[2:3]
	s_waitcnt vmcnt(2)
	v_readfirstlane_b32 s8, v2
	v_readfirstlane_b32 s9, v3
	s_add_u32 s10, s8, 1
	s_addc_u32 s11, s9, 0
	s_add_u32 s0, s10, s4
	s_addc_u32 s1, s11, s5
	s_cmp_eq_u64 s[0:1], 0
	s_cselect_b32 s1, s11, s1
	s_cselect_b32 s0, s10, s0
	s_and_b64 s[4:5], s[0:1], s[8:9]
	s_mul_i32 s5, s5, 24
	s_mul_hi_u32 s8, s4, 24
	s_mul_i32 s4, s4, 24
	s_add_i32 s5, s8, s5
	v_mov_b32_e32 v2, s5
	s_waitcnt vmcnt(0)
	v_add_co_u32_e32 v6, vcc, s4, v4
	v_addc_co_u32_e32 v7, vcc, v5, v2, vcc
	v_mov_b32_e32 v9, s0
	global_store_dwordx2 v[6:7], v[11:12], off
	v_mov_b32_e32 v10, s1
	s_waitcnt vmcnt(0)
	global_atomic_cmpswap_x2 v[4:5], v8, v[9:12], s[2:3] offset:24 glc
	s_mov_b64 s[4:5], 0
	s_waitcnt vmcnt(0)
	v_cmp_ne_u64_e32 vcc, v[4:5], v[11:12]
	s_and_b64 exec, exec, vcc
	s_cbranch_execz .LBB7_25
.LBB7_24:                               ; =>This Inner Loop Header: Depth=1
	s_sleep 1
	global_store_dwordx2 v[6:7], v[4:5], off
	v_mov_b32_e32 v2, s0
	v_mov_b32_e32 v3, s1
	s_waitcnt vmcnt(0)
	global_atomic_cmpswap_x2 v[2:3], v8, v[2:5], s[2:3] offset:24 glc
	s_waitcnt vmcnt(0)
	v_cmp_eq_u64_e32 vcc, v[2:3], v[4:5]
	v_mov_b32_e32 v5, v3
	s_or_b64 s[4:5], vcc, s[4:5]
	v_mov_b32_e32 v4, v2
	s_andn2_b64 exec, exec, s[4:5]
	s_cbranch_execnz .LBB7_24
.LBB7_25:
	s_or_b64 exec, exec, s[6:7]
	s_getpc_b64 s[4:5]
	s_add_u32 s4, s4, .str@rel32@lo+4
	s_addc_u32 s5, s5, .str@rel32@hi+12
	s_cmp_lg_u64 s[4:5], 0
	s_cselect_b64 s[0:1], -1, 0
	s_cmp_eq_u64 s[4:5], 0
	s_mov_b64 s[4:5], 0
	s_cbranch_scc1 .LBB7_29
; %bb.26:
	v_mov_b32_e32 v2, 0
	s_getpc_b64 s[4:5]
	s_add_u32 s4, s4, .str@rel32@lo+3
	s_addc_u32 s5, s5, .str@rel32@hi+11
.LBB7_27:                               ; =>This Inner Loop Header: Depth=1
	global_load_ubyte v3, v2, s[4:5] offset:1
	s_add_u32 s6, s4, 1
	s_addc_u32 s7, s5, 0
	s_mov_b64 s[4:5], s[6:7]
	s_waitcnt vmcnt(0)
	v_cmp_ne_u32_e32 vcc, 0, v3
	s_cbranch_vccnz .LBB7_27
; %bb.28:
	s_getpc_b64 s[4:5]
	s_add_u32 s4, s4, .str@rel32@lo+4
	s_addc_u32 s5, s5, .str@rel32@hi+12
	s_sub_u32 s4, s6, s4
	s_subb_u32 s5, s7, s5
	s_add_u32 s4, s4, 1
	s_addc_u32 s5, s5, 0
.LBB7_29:
	s_and_b64 vcc, exec, s[0:1]
	s_cbranch_vccz .LBB7_115
; %bb.30:
	s_waitcnt vmcnt(0)
	v_and_b32_e32 v6, -3, v0
	v_mov_b32_e32 v7, v1
	v_mov_b32_e32 v26, 0
	;; [unrolled: 1-line block ×4, first 2 shown]
	s_getpc_b64 s[6:7]
	s_add_u32 s6, s6, .str@rel32@lo+4
	s_addc_u32 s7, s7, .str@rel32@hi+12
	s_branch .LBB7_32
.LBB7_31:                               ;   in Loop: Header=BB7_32 Depth=1
	s_or_b64 exec, exec, s[12:13]
	s_sub_u32 s4, s4, s8
	s_subb_u32 s5, s5, s9
	s_add_u32 s6, s6, s8
	s_addc_u32 s7, s7, s9
	s_cmp_lg_u64 s[4:5], 0
	s_cbranch_scc0 .LBB7_114
.LBB7_32:                               ; =>This Loop Header: Depth=1
                                        ;     Child Loop BB7_35 Depth 2
                                        ;     Child Loop BB7_43 Depth 2
	;; [unrolled: 1-line block ×11, first 2 shown]
	v_cmp_lt_u64_e64 s[0:1], s[4:5], 56
	v_cmp_gt_u64_e64 s[10:11], s[4:5], 7
	s_and_b64 s[0:1], s[0:1], exec
	s_cselect_b32 s9, s5, 0
	s_cselect_b32 s8, s4, 56
	s_add_u32 s0, s6, 8
	s_addc_u32 s1, s7, 0
	s_and_b64 vcc, exec, s[10:11]
	s_cbranch_vccnz .LBB7_36
; %bb.33:                               ;   in Loop: Header=BB7_32 Depth=1
	s_cmp_eq_u64 s[4:5], 0
	s_cbranch_scc1 .LBB7_37
; %bb.34:                               ;   in Loop: Header=BB7_32 Depth=1
	s_waitcnt vmcnt(0)
	v_mov_b32_e32 v8, 0
	s_lshl_b64 s[0:1], s[8:9], 3
	s_mov_b64 s[10:11], 0
	v_mov_b32_e32 v9, 0
	s_mov_b64 s[12:13], s[6:7]
.LBB7_35:                               ;   Parent Loop BB7_32 Depth=1
                                        ; =>  This Inner Loop Header: Depth=2
	global_load_ubyte v2, v26, s[12:13]
	s_waitcnt vmcnt(0)
	v_and_b32_e32 v25, 0xffff, v2
	v_lshlrev_b64 v[2:3], s10, v[25:26]
	s_add_u32 s10, s10, 8
	s_addc_u32 s11, s11, 0
	s_add_u32 s12, s12, 1
	s_addc_u32 s13, s13, 0
	v_or_b32_e32 v8, v2, v8
	s_cmp_lg_u32 s0, s10
	v_or_b32_e32 v9, v3, v9
	s_cbranch_scc1 .LBB7_35
	s_branch .LBB7_38
.LBB7_36:                               ;   in Loop: Header=BB7_32 Depth=1
	s_mov_b32 s14, 0
	s_branch .LBB7_39
.LBB7_37:                               ;   in Loop: Header=BB7_32 Depth=1
	s_waitcnt vmcnt(0)
	v_mov_b32_e32 v8, 0
	v_mov_b32_e32 v9, 0
.LBB7_38:                               ;   in Loop: Header=BB7_32 Depth=1
	s_mov_b64 s[0:1], s[6:7]
	s_mov_b32 s14, 0
	s_cbranch_execnz .LBB7_40
.LBB7_39:                               ;   in Loop: Header=BB7_32 Depth=1
	global_load_dwordx2 v[8:9], v26, s[6:7]
	s_add_i32 s14, s8, -8
.LBB7_40:                               ;   in Loop: Header=BB7_32 Depth=1
	s_add_u32 s10, s0, 8
	s_addc_u32 s11, s1, 0
	s_cmp_gt_u32 s14, 7
	s_cbranch_scc1 .LBB7_44
; %bb.41:                               ;   in Loop: Header=BB7_32 Depth=1
	s_cmp_eq_u32 s14, 0
	s_cbranch_scc1 .LBB7_45
; %bb.42:                               ;   in Loop: Header=BB7_32 Depth=1
	v_mov_b32_e32 v10, 0
	s_mov_b64 s[10:11], 0
	v_mov_b32_e32 v11, 0
	s_mov_b64 s[12:13], 0
.LBB7_43:                               ;   Parent Loop BB7_32 Depth=1
                                        ; =>  This Inner Loop Header: Depth=2
	s_add_u32 s16, s0, s12
	s_addc_u32 s17, s1, s13
	global_load_ubyte v2, v26, s[16:17]
	s_add_u32 s12, s12, 1
	s_addc_u32 s13, s13, 0
	s_waitcnt vmcnt(0)
	v_and_b32_e32 v25, 0xffff, v2
	v_lshlrev_b64 v[2:3], s10, v[25:26]
	s_add_u32 s10, s10, 8
	s_addc_u32 s11, s11, 0
	v_or_b32_e32 v10, v2, v10
	s_cmp_lg_u32 s14, s12
	v_or_b32_e32 v11, v3, v11
	s_cbranch_scc1 .LBB7_43
	s_branch .LBB7_46
.LBB7_44:                               ;   in Loop: Header=BB7_32 Depth=1
                                        ; implicit-def: $vgpr10_vgpr11
	s_mov_b32 s15, 0
	s_branch .LBB7_47
.LBB7_45:                               ;   in Loop: Header=BB7_32 Depth=1
	v_mov_b32_e32 v10, 0
	v_mov_b32_e32 v11, 0
.LBB7_46:                               ;   in Loop: Header=BB7_32 Depth=1
	s_mov_b64 s[10:11], s[0:1]
	s_mov_b32 s15, 0
	s_cbranch_execnz .LBB7_48
.LBB7_47:                               ;   in Loop: Header=BB7_32 Depth=1
	global_load_dwordx2 v[10:11], v26, s[0:1]
	s_add_i32 s15, s14, -8
.LBB7_48:                               ;   in Loop: Header=BB7_32 Depth=1
	s_add_u32 s0, s10, 8
	s_addc_u32 s1, s11, 0
	s_cmp_gt_u32 s15, 7
	s_cbranch_scc1 .LBB7_52
; %bb.49:                               ;   in Loop: Header=BB7_32 Depth=1
	s_cmp_eq_u32 s15, 0
	s_cbranch_scc1 .LBB7_53
; %bb.50:                               ;   in Loop: Header=BB7_32 Depth=1
	v_mov_b32_e32 v12, 0
	s_mov_b64 s[0:1], 0
	v_mov_b32_e32 v13, 0
	s_mov_b64 s[12:13], 0
.LBB7_51:                               ;   Parent Loop BB7_32 Depth=1
                                        ; =>  This Inner Loop Header: Depth=2
	s_add_u32 s16, s10, s12
	s_addc_u32 s17, s11, s13
	global_load_ubyte v2, v26, s[16:17]
	s_add_u32 s12, s12, 1
	s_addc_u32 s13, s13, 0
	s_waitcnt vmcnt(0)
	v_and_b32_e32 v25, 0xffff, v2
	v_lshlrev_b64 v[2:3], s0, v[25:26]
	s_add_u32 s0, s0, 8
	s_addc_u32 s1, s1, 0
	v_or_b32_e32 v12, v2, v12
	s_cmp_lg_u32 s15, s12
	v_or_b32_e32 v13, v3, v13
	s_cbranch_scc1 .LBB7_51
	s_branch .LBB7_54
.LBB7_52:                               ;   in Loop: Header=BB7_32 Depth=1
	s_mov_b32 s14, 0
	s_branch .LBB7_55
.LBB7_53:                               ;   in Loop: Header=BB7_32 Depth=1
	v_mov_b32_e32 v12, 0
	v_mov_b32_e32 v13, 0
.LBB7_54:                               ;   in Loop: Header=BB7_32 Depth=1
	s_mov_b64 s[0:1], s[10:11]
	s_mov_b32 s14, 0
	s_cbranch_execnz .LBB7_56
.LBB7_55:                               ;   in Loop: Header=BB7_32 Depth=1
	global_load_dwordx2 v[12:13], v26, s[10:11]
	s_add_i32 s14, s15, -8
.LBB7_56:                               ;   in Loop: Header=BB7_32 Depth=1
	s_add_u32 s10, s0, 8
	s_addc_u32 s11, s1, 0
	s_cmp_gt_u32 s14, 7
	s_cbranch_scc1 .LBB7_60
; %bb.57:                               ;   in Loop: Header=BB7_32 Depth=1
	s_cmp_eq_u32 s14, 0
	s_cbranch_scc1 .LBB7_61
; %bb.58:                               ;   in Loop: Header=BB7_32 Depth=1
	v_mov_b32_e32 v14, 0
	s_mov_b64 s[10:11], 0
	v_mov_b32_e32 v15, 0
	s_mov_b64 s[12:13], 0
.LBB7_59:                               ;   Parent Loop BB7_32 Depth=1
                                        ; =>  This Inner Loop Header: Depth=2
	s_add_u32 s16, s0, s12
	s_addc_u32 s17, s1, s13
	global_load_ubyte v2, v26, s[16:17]
	s_add_u32 s12, s12, 1
	s_addc_u32 s13, s13, 0
	s_waitcnt vmcnt(0)
	v_and_b32_e32 v25, 0xffff, v2
	v_lshlrev_b64 v[2:3], s10, v[25:26]
	s_add_u32 s10, s10, 8
	s_addc_u32 s11, s11, 0
	v_or_b32_e32 v14, v2, v14
	s_cmp_lg_u32 s14, s12
	v_or_b32_e32 v15, v3, v15
	s_cbranch_scc1 .LBB7_59
	s_branch .LBB7_62
.LBB7_60:                               ;   in Loop: Header=BB7_32 Depth=1
                                        ; implicit-def: $vgpr14_vgpr15
	s_mov_b32 s15, 0
	s_branch .LBB7_63
.LBB7_61:                               ;   in Loop: Header=BB7_32 Depth=1
	v_mov_b32_e32 v14, 0
	v_mov_b32_e32 v15, 0
.LBB7_62:                               ;   in Loop: Header=BB7_32 Depth=1
	s_mov_b64 s[10:11], s[0:1]
	s_mov_b32 s15, 0
	s_cbranch_execnz .LBB7_64
.LBB7_63:                               ;   in Loop: Header=BB7_32 Depth=1
	global_load_dwordx2 v[14:15], v26, s[0:1]
	s_add_i32 s15, s14, -8
.LBB7_64:                               ;   in Loop: Header=BB7_32 Depth=1
	s_add_u32 s0, s10, 8
	s_addc_u32 s1, s11, 0
	s_cmp_gt_u32 s15, 7
	s_cbranch_scc1 .LBB7_68
; %bb.65:                               ;   in Loop: Header=BB7_32 Depth=1
	s_cmp_eq_u32 s15, 0
	s_cbranch_scc1 .LBB7_69
; %bb.66:                               ;   in Loop: Header=BB7_32 Depth=1
	v_mov_b32_e32 v16, 0
	s_mov_b64 s[0:1], 0
	v_mov_b32_e32 v17, 0
	s_mov_b64 s[12:13], 0
.LBB7_67:                               ;   Parent Loop BB7_32 Depth=1
                                        ; =>  This Inner Loop Header: Depth=2
	s_add_u32 s16, s10, s12
	s_addc_u32 s17, s11, s13
	global_load_ubyte v2, v26, s[16:17]
	s_add_u32 s12, s12, 1
	s_addc_u32 s13, s13, 0
	s_waitcnt vmcnt(0)
	v_and_b32_e32 v25, 0xffff, v2
	v_lshlrev_b64 v[2:3], s0, v[25:26]
	s_add_u32 s0, s0, 8
	s_addc_u32 s1, s1, 0
	v_or_b32_e32 v16, v2, v16
	s_cmp_lg_u32 s15, s12
	v_or_b32_e32 v17, v3, v17
	s_cbranch_scc1 .LBB7_67
	s_branch .LBB7_70
.LBB7_68:                               ;   in Loop: Header=BB7_32 Depth=1
	s_mov_b32 s14, 0
	s_branch .LBB7_71
.LBB7_69:                               ;   in Loop: Header=BB7_32 Depth=1
	v_mov_b32_e32 v16, 0
	v_mov_b32_e32 v17, 0
.LBB7_70:                               ;   in Loop: Header=BB7_32 Depth=1
	s_mov_b64 s[0:1], s[10:11]
	s_mov_b32 s14, 0
	s_cbranch_execnz .LBB7_72
.LBB7_71:                               ;   in Loop: Header=BB7_32 Depth=1
	global_load_dwordx2 v[16:17], v26, s[10:11]
	s_add_i32 s14, s15, -8
.LBB7_72:                               ;   in Loop: Header=BB7_32 Depth=1
	s_add_u32 s10, s0, 8
	s_addc_u32 s11, s1, 0
	s_cmp_gt_u32 s14, 7
	s_cbranch_scc1 .LBB7_76
; %bb.73:                               ;   in Loop: Header=BB7_32 Depth=1
	s_cmp_eq_u32 s14, 0
	s_cbranch_scc1 .LBB7_77
; %bb.74:                               ;   in Loop: Header=BB7_32 Depth=1
	v_mov_b32_e32 v18, 0
	s_mov_b64 s[10:11], 0
	v_mov_b32_e32 v19, 0
	s_mov_b64 s[12:13], 0
.LBB7_75:                               ;   Parent Loop BB7_32 Depth=1
                                        ; =>  This Inner Loop Header: Depth=2
	s_add_u32 s16, s0, s12
	s_addc_u32 s17, s1, s13
	global_load_ubyte v2, v26, s[16:17]
	s_add_u32 s12, s12, 1
	s_addc_u32 s13, s13, 0
	s_waitcnt vmcnt(0)
	v_and_b32_e32 v25, 0xffff, v2
	v_lshlrev_b64 v[2:3], s10, v[25:26]
	s_add_u32 s10, s10, 8
	s_addc_u32 s11, s11, 0
	v_or_b32_e32 v18, v2, v18
	s_cmp_lg_u32 s14, s12
	v_or_b32_e32 v19, v3, v19
	s_cbranch_scc1 .LBB7_75
	s_branch .LBB7_78
.LBB7_76:                               ;   in Loop: Header=BB7_32 Depth=1
                                        ; implicit-def: $vgpr18_vgpr19
	s_mov_b32 s15, 0
	s_branch .LBB7_79
.LBB7_77:                               ;   in Loop: Header=BB7_32 Depth=1
	v_mov_b32_e32 v18, 0
	v_mov_b32_e32 v19, 0
.LBB7_78:                               ;   in Loop: Header=BB7_32 Depth=1
	s_mov_b64 s[10:11], s[0:1]
	s_mov_b32 s15, 0
	s_cbranch_execnz .LBB7_80
.LBB7_79:                               ;   in Loop: Header=BB7_32 Depth=1
	global_load_dwordx2 v[18:19], v26, s[0:1]
	s_add_i32 s15, s14, -8
.LBB7_80:                               ;   in Loop: Header=BB7_32 Depth=1
	s_cmp_gt_u32 s15, 7
	s_cbranch_scc1 .LBB7_84
; %bb.81:                               ;   in Loop: Header=BB7_32 Depth=1
	s_cmp_eq_u32 s15, 0
	s_cbranch_scc1 .LBB7_85
; %bb.82:                               ;   in Loop: Header=BB7_32 Depth=1
	v_mov_b32_e32 v20, 0
	s_mov_b64 s[0:1], 0
	v_mov_b32_e32 v21, 0
	s_mov_b64 s[12:13], s[10:11]
.LBB7_83:                               ;   Parent Loop BB7_32 Depth=1
                                        ; =>  This Inner Loop Header: Depth=2
	global_load_ubyte v2, v26, s[12:13]
	s_add_i32 s15, s15, -1
	s_waitcnt vmcnt(0)
	v_and_b32_e32 v25, 0xffff, v2
	v_lshlrev_b64 v[2:3], s0, v[25:26]
	s_add_u32 s0, s0, 8
	s_addc_u32 s1, s1, 0
	s_add_u32 s12, s12, 1
	s_addc_u32 s13, s13, 0
	v_or_b32_e32 v20, v2, v20
	s_cmp_lg_u32 s15, 0
	v_or_b32_e32 v21, v3, v21
	s_cbranch_scc1 .LBB7_83
	s_branch .LBB7_86
.LBB7_84:                               ;   in Loop: Header=BB7_32 Depth=1
	s_branch .LBB7_87
.LBB7_85:                               ;   in Loop: Header=BB7_32 Depth=1
	v_mov_b32_e32 v20, 0
	v_mov_b32_e32 v21, 0
.LBB7_86:                               ;   in Loop: Header=BB7_32 Depth=1
	s_cbranch_execnz .LBB7_88
.LBB7_87:                               ;   in Loop: Header=BB7_32 Depth=1
	global_load_dwordx2 v[20:21], v26, s[10:11]
.LBB7_88:                               ;   in Loop: Header=BB7_32 Depth=1
	v_readfirstlane_b32 s0, v30
	v_mov_b32_e32 v2, 0
	v_mov_b32_e32 v3, 0
	v_cmp_eq_u32_e64 s[0:1], s0, v30
	s_and_saveexec_b64 s[10:11], s[0:1]
	s_cbranch_execz .LBB7_94
; %bb.89:                               ;   in Loop: Header=BB7_32 Depth=1
	global_load_dwordx2 v[24:25], v26, s[2:3] offset:24 glc
	s_waitcnt vmcnt(0)
	buffer_wbinvl1_vol
	global_load_dwordx2 v[2:3], v26, s[2:3] offset:40
	global_load_dwordx2 v[22:23], v26, s[2:3]
	s_waitcnt vmcnt(1)
	v_and_b32_e32 v2, v2, v24
	v_and_b32_e32 v3, v3, v25
	v_mul_lo_u32 v3, v3, 24
	v_mul_hi_u32 v27, v2, 24
	v_mul_lo_u32 v2, v2, 24
	v_add_u32_e32 v3, v27, v3
	s_waitcnt vmcnt(0)
	v_add_co_u32_e32 v2, vcc, v22, v2
	v_addc_co_u32_e32 v3, vcc, v23, v3, vcc
	global_load_dwordx2 v[22:23], v[2:3], off glc
	s_waitcnt vmcnt(0)
	global_atomic_cmpswap_x2 v[2:3], v26, v[22:25], s[2:3] offset:24 glc
	s_waitcnt vmcnt(0)
	buffer_wbinvl1_vol
	v_cmp_ne_u64_e32 vcc, v[2:3], v[24:25]
	s_and_saveexec_b64 s[12:13], vcc
	s_cbranch_execz .LBB7_93
; %bb.90:                               ;   in Loop: Header=BB7_32 Depth=1
	s_mov_b64 s[14:15], 0
.LBB7_91:                               ;   Parent Loop BB7_32 Depth=1
                                        ; =>  This Inner Loop Header: Depth=2
	s_sleep 1
	global_load_dwordx2 v[22:23], v26, s[2:3] offset:40
	global_load_dwordx2 v[27:28], v26, s[2:3]
	v_mov_b32_e32 v25, v3
	v_mov_b32_e32 v24, v2
	s_waitcnt vmcnt(1)
	v_and_b32_e32 v2, v22, v24
	s_waitcnt vmcnt(0)
	v_mad_u64_u32 v[2:3], s[16:17], v2, 24, v[27:28]
	v_and_b32_e32 v22, v23, v25
	v_mad_u64_u32 v[22:23], s[16:17], v22, 24, v[3:4]
	v_mov_b32_e32 v3, v22
	global_load_dwordx2 v[22:23], v[2:3], off glc
	s_waitcnt vmcnt(0)
	global_atomic_cmpswap_x2 v[2:3], v26, v[22:25], s[2:3] offset:24 glc
	s_waitcnt vmcnt(0)
	buffer_wbinvl1_vol
	v_cmp_eq_u64_e32 vcc, v[2:3], v[24:25]
	s_or_b64 s[14:15], vcc, s[14:15]
	s_andn2_b64 exec, exec, s[14:15]
	s_cbranch_execnz .LBB7_91
; %bb.92:                               ;   in Loop: Header=BB7_32 Depth=1
	s_or_b64 exec, exec, s[14:15]
.LBB7_93:                               ;   in Loop: Header=BB7_32 Depth=1
	s_or_b64 exec, exec, s[12:13]
.LBB7_94:                               ;   in Loop: Header=BB7_32 Depth=1
	s_or_b64 exec, exec, s[10:11]
	global_load_dwordx2 v[27:28], v26, s[2:3] offset:40
	global_load_dwordx4 v[22:25], v26, s[2:3]
	v_readfirstlane_b32 s11, v3
	v_readfirstlane_b32 s10, v2
	s_mov_b64 s[12:13], exec
	s_waitcnt vmcnt(1)
	v_readfirstlane_b32 s14, v27
	v_readfirstlane_b32 s15, v28
	s_and_b64 s[14:15], s[14:15], s[10:11]
	s_mul_i32 s16, s15, 24
	s_mul_hi_u32 s17, s14, 24
	s_mul_i32 s18, s14, 24
	s_add_i32 s16, s17, s16
	v_mov_b32_e32 v2, s16
	s_waitcnt vmcnt(0)
	v_add_co_u32_e32 v27, vcc, s18, v22
	v_addc_co_u32_e32 v28, vcc, v23, v2, vcc
	s_and_saveexec_b64 s[16:17], s[0:1]
	s_cbranch_execz .LBB7_96
; %bb.95:                               ;   in Loop: Header=BB7_32 Depth=1
	v_mov_b32_e32 v2, s12
	v_mov_b32_e32 v3, s13
	global_store_dwordx4 v[27:28], v[2:5], off offset:8
.LBB7_96:                               ;   in Loop: Header=BB7_32 Depth=1
	s_or_b64 exec, exec, s[16:17]
	s_lshl_b64 s[12:13], s[14:15], 12
	v_cmp_gt_u64_e64 s[14:15], s[4:5], 56
	v_mov_b32_e32 v2, s13
	v_add_co_u32_e32 v24, vcc, s12, v24
	s_and_b64 s[12:13], s[14:15], exec
	s_cselect_b32 s12, 0, 2
	s_lshl_b32 s13, s8, 2
	v_addc_co_u32_e32 v31, vcc, v25, v2, vcc
	s_add_i32 s13, s13, 28
	v_and_b32_e32 v2, 0xffffff1f, v6
	s_and_b32 s13, s13, 0x1e0
	v_or_b32_e32 v2, s12, v2
	v_or_b32_e32 v6, s13, v2
	v_readfirstlane_b32 s12, v24
	v_readfirstlane_b32 s13, v31
	s_nop 4
	global_store_dwordx4 v29, v[6:9], s[12:13]
	global_store_dwordx4 v29, v[10:13], s[12:13] offset:16
	global_store_dwordx4 v29, v[14:17], s[12:13] offset:32
	;; [unrolled: 1-line block ×3, first 2 shown]
	s_and_saveexec_b64 s[12:13], s[0:1]
	s_cbranch_execz .LBB7_104
; %bb.97:                               ;   in Loop: Header=BB7_32 Depth=1
	global_load_dwordx2 v[10:11], v26, s[2:3] offset:32 glc
	global_load_dwordx2 v[2:3], v26, s[2:3] offset:40
	v_mov_b32_e32 v8, s10
	v_mov_b32_e32 v9, s11
	s_waitcnt vmcnt(0)
	v_readfirstlane_b32 s14, v2
	v_readfirstlane_b32 s15, v3
	s_and_b64 s[14:15], s[14:15], s[10:11]
	s_mul_i32 s15, s15, 24
	s_mul_hi_u32 s16, s14, 24
	s_mul_i32 s14, s14, 24
	s_add_i32 s15, s16, s15
	v_mov_b32_e32 v3, s15
	v_add_co_u32_e32 v2, vcc, s14, v22
	v_addc_co_u32_e32 v3, vcc, v23, v3, vcc
	global_store_dwordx2 v[2:3], v[10:11], off
	s_waitcnt vmcnt(0)
	global_atomic_cmpswap_x2 v[8:9], v26, v[8:11], s[2:3] offset:32 glc
	s_waitcnt vmcnt(0)
	v_cmp_ne_u64_e32 vcc, v[8:9], v[10:11]
	s_and_saveexec_b64 s[14:15], vcc
	s_cbranch_execz .LBB7_100
; %bb.98:                               ;   in Loop: Header=BB7_32 Depth=1
	s_mov_b64 s[16:17], 0
.LBB7_99:                               ;   Parent Loop BB7_32 Depth=1
                                        ; =>  This Inner Loop Header: Depth=2
	s_sleep 1
	global_store_dwordx2 v[2:3], v[8:9], off
	v_mov_b32_e32 v6, s10
	v_mov_b32_e32 v7, s11
	s_waitcnt vmcnt(0)
	global_atomic_cmpswap_x2 v[6:7], v26, v[6:9], s[2:3] offset:32 glc
	s_waitcnt vmcnt(0)
	v_cmp_eq_u64_e32 vcc, v[6:7], v[8:9]
	v_mov_b32_e32 v9, v7
	s_or_b64 s[16:17], vcc, s[16:17]
	v_mov_b32_e32 v8, v6
	s_andn2_b64 exec, exec, s[16:17]
	s_cbranch_execnz .LBB7_99
.LBB7_100:                              ;   in Loop: Header=BB7_32 Depth=1
	s_or_b64 exec, exec, s[14:15]
	global_load_dwordx2 v[2:3], v26, s[2:3] offset:16
	s_mov_b64 s[16:17], exec
	v_mbcnt_lo_u32_b32 v6, s16, 0
	v_mbcnt_hi_u32_b32 v6, s17, v6
	v_cmp_eq_u32_e32 vcc, 0, v6
	s_and_saveexec_b64 s[14:15], vcc
	s_cbranch_execz .LBB7_102
; %bb.101:                              ;   in Loop: Header=BB7_32 Depth=1
	s_bcnt1_i32_b64 s16, s[16:17]
	v_mov_b32_e32 v25, s16
	s_waitcnt vmcnt(0)
	global_atomic_add_x2 v[2:3], v[25:26], off offset:8
.LBB7_102:                              ;   in Loop: Header=BB7_32 Depth=1
	s_or_b64 exec, exec, s[14:15]
	s_waitcnt vmcnt(0)
	global_load_dwordx2 v[6:7], v[2:3], off offset:16
	s_waitcnt vmcnt(0)
	v_cmp_eq_u64_e32 vcc, 0, v[6:7]
	s_cbranch_vccnz .LBB7_104
; %bb.103:                              ;   in Loop: Header=BB7_32 Depth=1
	global_load_dword v25, v[2:3], off offset:24
	s_waitcnt vmcnt(0)
	v_readfirstlane_b32 s14, v25
	s_and_b32 m0, s14, 0xffffff
	global_store_dwordx2 v[6:7], v[25:26], off
	s_sendmsg sendmsg(MSG_INTERRUPT)
.LBB7_104:                              ;   in Loop: Header=BB7_32 Depth=1
	s_or_b64 exec, exec, s[12:13]
	v_add_co_u32_e32 v2, vcc, v24, v29
	v_addc_co_u32_e32 v3, vcc, 0, v31, vcc
	s_branch .LBB7_108
.LBB7_105:                              ;   in Loop: Header=BB7_108 Depth=2
	s_or_b64 exec, exec, s[12:13]
	v_readfirstlane_b32 s12, v6
	s_cmp_eq_u32 s12, 0
	s_cbranch_scc1 .LBB7_107
; %bb.106:                              ;   in Loop: Header=BB7_108 Depth=2
	s_sleep 1
	s_cbranch_execnz .LBB7_108
	s_branch .LBB7_110
.LBB7_107:                              ;   in Loop: Header=BB7_32 Depth=1
	s_branch .LBB7_110
.LBB7_108:                              ;   Parent Loop BB7_32 Depth=1
                                        ; =>  This Inner Loop Header: Depth=2
	v_mov_b32_e32 v6, 1
	s_and_saveexec_b64 s[12:13], s[0:1]
	s_cbranch_execz .LBB7_105
; %bb.109:                              ;   in Loop: Header=BB7_108 Depth=2
	global_load_dword v6, v[27:28], off offset:20 glc
	s_waitcnt vmcnt(0)
	buffer_wbinvl1_vol
	v_and_b32_e32 v6, 1, v6
	s_branch .LBB7_105
.LBB7_110:                              ;   in Loop: Header=BB7_32 Depth=1
	global_load_dwordx4 v[6:9], v[2:3], off
	s_and_saveexec_b64 s[12:13], s[0:1]
	s_cbranch_execz .LBB7_31
; %bb.111:                              ;   in Loop: Header=BB7_32 Depth=1
	global_load_dwordx2 v[2:3], v26, s[2:3] offset:40
	global_load_dwordx2 v[12:13], v26, s[2:3] offset:24 glc
	global_load_dwordx2 v[8:9], v26, s[2:3]
	s_waitcnt vmcnt(2)
	v_readfirstlane_b32 s14, v2
	v_readfirstlane_b32 s15, v3
	s_add_u32 s16, s14, 1
	s_addc_u32 s17, s15, 0
	s_add_u32 s0, s16, s10
	s_addc_u32 s1, s17, s11
	s_cmp_eq_u64 s[0:1], 0
	s_cselect_b32 s1, s17, s1
	s_cselect_b32 s0, s16, s0
	s_and_b64 s[10:11], s[0:1], s[14:15]
	s_mul_i32 s11, s11, 24
	s_mul_hi_u32 s14, s10, 24
	s_mul_i32 s10, s10, 24
	s_add_i32 s11, s14, s11
	v_mov_b32_e32 v3, s11
	s_waitcnt vmcnt(0)
	v_add_co_u32_e32 v2, vcc, s10, v8
	v_addc_co_u32_e32 v3, vcc, v9, v3, vcc
	v_mov_b32_e32 v10, s0
	global_store_dwordx2 v[2:3], v[12:13], off
	v_mov_b32_e32 v11, s1
	s_waitcnt vmcnt(0)
	global_atomic_cmpswap_x2 v[10:11], v26, v[10:13], s[2:3] offset:24 glc
	s_waitcnt vmcnt(0)
	v_cmp_ne_u64_e32 vcc, v[10:11], v[12:13]
	s_and_b64 exec, exec, vcc
	s_cbranch_execz .LBB7_31
; %bb.112:                              ;   in Loop: Header=BB7_32 Depth=1
	s_mov_b64 s[10:11], 0
.LBB7_113:                              ;   Parent Loop BB7_32 Depth=1
                                        ; =>  This Inner Loop Header: Depth=2
	s_sleep 1
	global_store_dwordx2 v[2:3], v[10:11], off
	v_mov_b32_e32 v8, s0
	v_mov_b32_e32 v9, s1
	s_waitcnt vmcnt(0)
	global_atomic_cmpswap_x2 v[8:9], v26, v[8:11], s[2:3] offset:24 glc
	s_waitcnt vmcnt(0)
	v_cmp_eq_u64_e32 vcc, v[8:9], v[10:11]
	v_mov_b32_e32 v11, v9
	s_or_b64 s[10:11], vcc, s[10:11]
	v_mov_b32_e32 v10, v8
	s_andn2_b64 exec, exec, s[10:11]
	s_cbranch_execnz .LBB7_113
	s_branch .LBB7_31
.LBB7_114:
	s_branch .LBB7_141
.LBB7_115:
	s_cbranch_execz .LBB7_141
; %bb.116:
	v_readfirstlane_b32 s0, v30
	s_waitcnt vmcnt(0)
	v_mov_b32_e32 v8, 0
	v_mov_b32_e32 v9, 0
	v_cmp_eq_u32_e64 s[0:1], s0, v30
	s_and_saveexec_b64 s[4:5], s[0:1]
	s_cbranch_execz .LBB7_122
; %bb.117:
	v_mov_b32_e32 v2, 0
	global_load_dwordx2 v[5:6], v2, s[2:3] offset:24 glc
	s_waitcnt vmcnt(0)
	buffer_wbinvl1_vol
	global_load_dwordx2 v[3:4], v2, s[2:3] offset:40
	global_load_dwordx2 v[7:8], v2, s[2:3]
	s_waitcnt vmcnt(1)
	v_and_b32_e32 v3, v3, v5
	v_and_b32_e32 v4, v4, v6
	v_mul_lo_u32 v4, v4, 24
	v_mul_hi_u32 v9, v3, 24
	v_mul_lo_u32 v3, v3, 24
	v_add_u32_e32 v4, v9, v4
	s_waitcnt vmcnt(0)
	v_add_co_u32_e32 v3, vcc, v7, v3
	v_addc_co_u32_e32 v4, vcc, v8, v4, vcc
	global_load_dwordx2 v[3:4], v[3:4], off glc
	s_waitcnt vmcnt(0)
	global_atomic_cmpswap_x2 v[8:9], v2, v[3:6], s[2:3] offset:24 glc
	s_waitcnt vmcnt(0)
	buffer_wbinvl1_vol
	v_cmp_ne_u64_e32 vcc, v[8:9], v[5:6]
	s_and_saveexec_b64 s[6:7], vcc
	s_cbranch_execz .LBB7_121
; %bb.118:
	s_mov_b64 s[8:9], 0
.LBB7_119:                              ; =>This Inner Loop Header: Depth=1
	s_sleep 1
	global_load_dwordx2 v[3:4], v2, s[2:3] offset:40
	global_load_dwordx2 v[10:11], v2, s[2:3]
	v_mov_b32_e32 v5, v8
	v_mov_b32_e32 v6, v9
	s_waitcnt vmcnt(1)
	v_and_b32_e32 v3, v3, v5
	s_waitcnt vmcnt(0)
	v_mad_u64_u32 v[7:8], s[10:11], v3, 24, v[10:11]
	v_and_b32_e32 v4, v4, v6
	v_mov_b32_e32 v3, v8
	v_mad_u64_u32 v[3:4], s[10:11], v4, 24, v[3:4]
	v_mov_b32_e32 v8, v3
	global_load_dwordx2 v[3:4], v[7:8], off glc
	s_waitcnt vmcnt(0)
	global_atomic_cmpswap_x2 v[8:9], v2, v[3:6], s[2:3] offset:24 glc
	s_waitcnt vmcnt(0)
	buffer_wbinvl1_vol
	v_cmp_eq_u64_e32 vcc, v[8:9], v[5:6]
	s_or_b64 s[8:9], vcc, s[8:9]
	s_andn2_b64 exec, exec, s[8:9]
	s_cbranch_execnz .LBB7_119
; %bb.120:
	s_or_b64 exec, exec, s[8:9]
.LBB7_121:
	s_or_b64 exec, exec, s[6:7]
.LBB7_122:
	s_or_b64 exec, exec, s[4:5]
	v_mov_b32_e32 v2, 0
	global_load_dwordx2 v[10:11], v2, s[2:3] offset:40
	global_load_dwordx4 v[4:7], v2, s[2:3]
	v_readfirstlane_b32 s5, v9
	v_readfirstlane_b32 s4, v8
	s_mov_b64 s[6:7], exec
	s_waitcnt vmcnt(1)
	v_readfirstlane_b32 s8, v10
	v_readfirstlane_b32 s9, v11
	s_and_b64 s[8:9], s[8:9], s[4:5]
	s_mul_i32 s10, s9, 24
	s_mul_hi_u32 s11, s8, 24
	s_mul_i32 s12, s8, 24
	s_add_i32 s10, s11, s10
	v_mov_b32_e32 v3, s10
	s_waitcnt vmcnt(0)
	v_add_co_u32_e32 v8, vcc, s12, v4
	v_addc_co_u32_e32 v9, vcc, v5, v3, vcc
	s_and_saveexec_b64 s[10:11], s[0:1]
	s_cbranch_execz .LBB7_124
; %bb.123:
	v_mov_b32_e32 v11, s7
	v_mov_b32_e32 v10, s6
	;; [unrolled: 1-line block ×4, first 2 shown]
	global_store_dwordx4 v[8:9], v[10:13], off offset:8
.LBB7_124:
	s_or_b64 exec, exec, s[10:11]
	s_lshl_b64 s[6:7], s[8:9], 12
	v_mov_b32_e32 v3, s7
	v_add_co_u32_e32 v6, vcc, s6, v6
	v_addc_co_u32_e32 v7, vcc, v7, v3, vcc
	s_movk_i32 s6, 0xff1d
	v_and_or_b32 v0, v0, s6, 34
	s_mov_b32 s8, 0
	v_mov_b32_e32 v3, v2
	v_readfirstlane_b32 s6, v6
	v_readfirstlane_b32 s7, v7
	s_mov_b32 s9, s8
	s_mov_b32 s10, s8
	;; [unrolled: 1-line block ×3, first 2 shown]
	s_nop 1
	global_store_dwordx4 v29, v[0:3], s[6:7]
	s_nop 0
	v_mov_b32_e32 v0, s8
	v_mov_b32_e32 v1, s9
	;; [unrolled: 1-line block ×4, first 2 shown]
	global_store_dwordx4 v29, v[0:3], s[6:7] offset:16
	global_store_dwordx4 v29, v[0:3], s[6:7] offset:32
	;; [unrolled: 1-line block ×3, first 2 shown]
	s_and_saveexec_b64 s[6:7], s[0:1]
	s_cbranch_execz .LBB7_132
; %bb.125:
	v_mov_b32_e32 v6, 0
	global_load_dwordx2 v[12:13], v6, s[2:3] offset:32 glc
	global_load_dwordx2 v[0:1], v6, s[2:3] offset:40
	v_mov_b32_e32 v10, s4
	v_mov_b32_e32 v11, s5
	s_waitcnt vmcnt(0)
	v_readfirstlane_b32 s8, v0
	v_readfirstlane_b32 s9, v1
	s_and_b64 s[8:9], s[8:9], s[4:5]
	s_mul_i32 s9, s9, 24
	s_mul_hi_u32 s10, s8, 24
	s_mul_i32 s8, s8, 24
	s_add_i32 s9, s10, s9
	v_mov_b32_e32 v0, s9
	v_add_co_u32_e32 v4, vcc, s8, v4
	v_addc_co_u32_e32 v5, vcc, v5, v0, vcc
	global_store_dwordx2 v[4:5], v[12:13], off
	s_waitcnt vmcnt(0)
	global_atomic_cmpswap_x2 v[2:3], v6, v[10:13], s[2:3] offset:32 glc
	s_waitcnt vmcnt(0)
	v_cmp_ne_u64_e32 vcc, v[2:3], v[12:13]
	s_and_saveexec_b64 s[8:9], vcc
	s_cbranch_execz .LBB7_128
; %bb.126:
	s_mov_b64 s[10:11], 0
.LBB7_127:                              ; =>This Inner Loop Header: Depth=1
	s_sleep 1
	global_store_dwordx2 v[4:5], v[2:3], off
	v_mov_b32_e32 v0, s4
	v_mov_b32_e32 v1, s5
	s_waitcnt vmcnt(0)
	global_atomic_cmpswap_x2 v[0:1], v6, v[0:3], s[2:3] offset:32 glc
	s_waitcnt vmcnt(0)
	v_cmp_eq_u64_e32 vcc, v[0:1], v[2:3]
	v_mov_b32_e32 v3, v1
	s_or_b64 s[10:11], vcc, s[10:11]
	v_mov_b32_e32 v2, v0
	s_andn2_b64 exec, exec, s[10:11]
	s_cbranch_execnz .LBB7_127
.LBB7_128:
	s_or_b64 exec, exec, s[8:9]
	v_mov_b32_e32 v3, 0
	global_load_dwordx2 v[0:1], v3, s[2:3] offset:16
	s_mov_b64 s[8:9], exec
	v_mbcnt_lo_u32_b32 v2, s8, 0
	v_mbcnt_hi_u32_b32 v2, s9, v2
	v_cmp_eq_u32_e32 vcc, 0, v2
	s_and_saveexec_b64 s[10:11], vcc
	s_cbranch_execz .LBB7_130
; %bb.129:
	s_bcnt1_i32_b64 s8, s[8:9]
	v_mov_b32_e32 v2, s8
	s_waitcnt vmcnt(0)
	global_atomic_add_x2 v[0:1], v[2:3], off offset:8
.LBB7_130:
	s_or_b64 exec, exec, s[10:11]
	s_waitcnt vmcnt(0)
	global_load_dwordx2 v[2:3], v[0:1], off offset:16
	s_waitcnt vmcnt(0)
	v_cmp_eq_u64_e32 vcc, 0, v[2:3]
	s_cbranch_vccnz .LBB7_132
; %bb.131:
	global_load_dword v0, v[0:1], off offset:24
	v_mov_b32_e32 v1, 0
	s_waitcnt vmcnt(0)
	v_readfirstlane_b32 s8, v0
	s_and_b32 m0, s8, 0xffffff
	global_store_dwordx2 v[2:3], v[0:1], off
	s_sendmsg sendmsg(MSG_INTERRUPT)
.LBB7_132:
	s_or_b64 exec, exec, s[6:7]
	s_branch .LBB7_136
.LBB7_133:                              ;   in Loop: Header=BB7_136 Depth=1
	s_or_b64 exec, exec, s[6:7]
	v_readfirstlane_b32 s6, v0
	s_cmp_eq_u32 s6, 0
	s_cbranch_scc1 .LBB7_135
; %bb.134:                              ;   in Loop: Header=BB7_136 Depth=1
	s_sleep 1
	s_cbranch_execnz .LBB7_136
	s_branch .LBB7_138
.LBB7_135:
	s_branch .LBB7_138
.LBB7_136:                              ; =>This Inner Loop Header: Depth=1
	v_mov_b32_e32 v0, 1
	s_and_saveexec_b64 s[6:7], s[0:1]
	s_cbranch_execz .LBB7_133
; %bb.137:                              ;   in Loop: Header=BB7_136 Depth=1
	global_load_dword v0, v[8:9], off offset:20 glc
	s_waitcnt vmcnt(0)
	buffer_wbinvl1_vol
	v_and_b32_e32 v0, 1, v0
	s_branch .LBB7_133
.LBB7_138:
	s_and_saveexec_b64 s[6:7], s[0:1]
	s_cbranch_execz .LBB7_141
; %bb.139:
	v_mov_b32_e32 v6, 0
	global_load_dwordx2 v[0:1], v6, s[2:3] offset:40
	global_load_dwordx2 v[9:10], v6, s[2:3] offset:24 glc
	global_load_dwordx2 v[2:3], v6, s[2:3]
	s_waitcnt vmcnt(2)
	v_readfirstlane_b32 s6, v0
	v_readfirstlane_b32 s7, v1
	s_add_u32 s8, s6, 1
	s_addc_u32 s9, s7, 0
	s_add_u32 s0, s8, s4
	s_addc_u32 s1, s9, s5
	s_cmp_eq_u64 s[0:1], 0
	s_cselect_b32 s1, s9, s1
	s_cselect_b32 s0, s8, s0
	s_and_b64 s[4:5], s[0:1], s[6:7]
	s_mul_i32 s5, s5, 24
	s_mul_hi_u32 s6, s4, 24
	s_mul_i32 s4, s4, 24
	s_add_i32 s5, s6, s5
	v_mov_b32_e32 v0, s5
	s_waitcnt vmcnt(0)
	v_add_co_u32_e32 v4, vcc, s4, v2
	v_addc_co_u32_e32 v5, vcc, v3, v0, vcc
	v_mov_b32_e32 v7, s0
	global_store_dwordx2 v[4:5], v[9:10], off
	v_mov_b32_e32 v8, s1
	s_waitcnt vmcnt(0)
	global_atomic_cmpswap_x2 v[2:3], v6, v[7:10], s[2:3] offset:24 glc
	s_mov_b64 s[4:5], 0
	s_waitcnt vmcnt(0)
	v_cmp_ne_u64_e32 vcc, v[2:3], v[9:10]
	s_and_b64 exec, exec, vcc
	s_cbranch_execz .LBB7_141
.LBB7_140:                              ; =>This Inner Loop Header: Depth=1
	s_sleep 1
	global_store_dwordx2 v[4:5], v[2:3], off
	v_mov_b32_e32 v0, s0
	v_mov_b32_e32 v1, s1
	s_waitcnt vmcnt(0)
	global_atomic_cmpswap_x2 v[0:1], v6, v[0:3], s[2:3] offset:24 glc
	s_waitcnt vmcnt(0)
	v_cmp_eq_u64_e32 vcc, v[0:1], v[2:3]
	v_mov_b32_e32 v3, v1
	s_or_b64 s[4:5], vcc, s[4:5]
	v_mov_b32_e32 v2, v0
	s_andn2_b64 exec, exec, s[4:5]
	s_cbranch_execnz .LBB7_140
.LBB7_141:
	s_endpgm
	.section	.rodata,"a",@progbits
	.p2align	6, 0x0
	.amdhsa_kernel _ZN2at6native30tinygemm_m16n8k16_chunk_kernelINS0_10ALayout_RMILNS0_14KReductionTypeE0EEENS0_15BLayout_TC_int4ILi4ELi128EEES4_Li8ELi8EEEvPKvS8_S8_Pviiiiii
		.amdhsa_group_segment_fixed_size 0
		.amdhsa_private_segment_fixed_size 0
		.amdhsa_kernarg_size 312
		.amdhsa_user_sgpr_count 6
		.amdhsa_user_sgpr_private_segment_buffer 1
		.amdhsa_user_sgpr_dispatch_ptr 0
		.amdhsa_user_sgpr_queue_ptr 0
		.amdhsa_user_sgpr_kernarg_segment_ptr 1
		.amdhsa_user_sgpr_dispatch_id 0
		.amdhsa_user_sgpr_flat_scratch_init 0
		.amdhsa_user_sgpr_private_segment_size 0
		.amdhsa_uses_dynamic_stack 0
		.amdhsa_system_sgpr_private_segment_wavefront_offset 0
		.amdhsa_system_sgpr_workgroup_id_x 1
		.amdhsa_system_sgpr_workgroup_id_y 0
		.amdhsa_system_sgpr_workgroup_id_z 0
		.amdhsa_system_sgpr_workgroup_info 0
		.amdhsa_system_vgpr_workitem_id 0
		.amdhsa_next_free_vgpr 32
		.amdhsa_next_free_sgpr 19
		.amdhsa_reserve_vcc 1
		.amdhsa_reserve_flat_scratch 0
		.amdhsa_float_round_mode_32 0
		.amdhsa_float_round_mode_16_64 0
		.amdhsa_float_denorm_mode_32 3
		.amdhsa_float_denorm_mode_16_64 3
		.amdhsa_dx10_clamp 1
		.amdhsa_ieee_mode 1
		.amdhsa_fp16_overflow 0
		.amdhsa_exception_fp_ieee_invalid_op 0
		.amdhsa_exception_fp_denorm_src 0
		.amdhsa_exception_fp_ieee_div_zero 0
		.amdhsa_exception_fp_ieee_overflow 0
		.amdhsa_exception_fp_ieee_underflow 0
		.amdhsa_exception_fp_ieee_inexact 0
		.amdhsa_exception_int_div_zero 0
	.end_amdhsa_kernel
	.section	.text._ZN2at6native30tinygemm_m16n8k16_chunk_kernelINS0_10ALayout_RMILNS0_14KReductionTypeE0EEENS0_15BLayout_TC_int4ILi4ELi128EEES4_Li8ELi8EEEvPKvS8_S8_Pviiiiii,"axG",@progbits,_ZN2at6native30tinygemm_m16n8k16_chunk_kernelINS0_10ALayout_RMILNS0_14KReductionTypeE0EEENS0_15BLayout_TC_int4ILi4ELi128EEES4_Li8ELi8EEEvPKvS8_S8_Pviiiiii,comdat
.Lfunc_end7:
	.size	_ZN2at6native30tinygemm_m16n8k16_chunk_kernelINS0_10ALayout_RMILNS0_14KReductionTypeE0EEENS0_15BLayout_TC_int4ILi4ELi128EEES4_Li8ELi8EEEvPKvS8_S8_Pviiiiii, .Lfunc_end7-_ZN2at6native30tinygemm_m16n8k16_chunk_kernelINS0_10ALayout_RMILNS0_14KReductionTypeE0EEENS0_15BLayout_TC_int4ILi4ELi128EEES4_Li8ELi8EEEvPKvS8_S8_Pviiiiii
                                        ; -- End function
	.set _ZN2at6native30tinygemm_m16n8k16_chunk_kernelINS0_10ALayout_RMILNS0_14KReductionTypeE0EEENS0_15BLayout_TC_int4ILi4ELi128EEES4_Li8ELi8EEEvPKvS8_S8_Pviiiiii.num_vgpr, 32
	.set _ZN2at6native30tinygemm_m16n8k16_chunk_kernelINS0_10ALayout_RMILNS0_14KReductionTypeE0EEENS0_15BLayout_TC_int4ILi4ELi128EEES4_Li8ELi8EEEvPKvS8_S8_Pviiiiii.num_agpr, 0
	.set _ZN2at6native30tinygemm_m16n8k16_chunk_kernelINS0_10ALayout_RMILNS0_14KReductionTypeE0EEENS0_15BLayout_TC_int4ILi4ELi128EEES4_Li8ELi8EEEvPKvS8_S8_Pviiiiii.numbered_sgpr, 19
	.set _ZN2at6native30tinygemm_m16n8k16_chunk_kernelINS0_10ALayout_RMILNS0_14KReductionTypeE0EEENS0_15BLayout_TC_int4ILi4ELi128EEES4_Li8ELi8EEEvPKvS8_S8_Pviiiiii.num_named_barrier, 0
	.set _ZN2at6native30tinygemm_m16n8k16_chunk_kernelINS0_10ALayout_RMILNS0_14KReductionTypeE0EEENS0_15BLayout_TC_int4ILi4ELi128EEES4_Li8ELi8EEEvPKvS8_S8_Pviiiiii.private_seg_size, 0
	.set _ZN2at6native30tinygemm_m16n8k16_chunk_kernelINS0_10ALayout_RMILNS0_14KReductionTypeE0EEENS0_15BLayout_TC_int4ILi4ELi128EEES4_Li8ELi8EEEvPKvS8_S8_Pviiiiii.uses_vcc, 1
	.set _ZN2at6native30tinygemm_m16n8k16_chunk_kernelINS0_10ALayout_RMILNS0_14KReductionTypeE0EEENS0_15BLayout_TC_int4ILi4ELi128EEES4_Li8ELi8EEEvPKvS8_S8_Pviiiiii.uses_flat_scratch, 0
	.set _ZN2at6native30tinygemm_m16n8k16_chunk_kernelINS0_10ALayout_RMILNS0_14KReductionTypeE0EEENS0_15BLayout_TC_int4ILi4ELi128EEES4_Li8ELi8EEEvPKvS8_S8_Pviiiiii.has_dyn_sized_stack, 0
	.set _ZN2at6native30tinygemm_m16n8k16_chunk_kernelINS0_10ALayout_RMILNS0_14KReductionTypeE0EEENS0_15BLayout_TC_int4ILi4ELi128EEES4_Li8ELi8EEEvPKvS8_S8_Pviiiiii.has_recursion, 0
	.set _ZN2at6native30tinygemm_m16n8k16_chunk_kernelINS0_10ALayout_RMILNS0_14KReductionTypeE0EEENS0_15BLayout_TC_int4ILi4ELi128EEES4_Li8ELi8EEEvPKvS8_S8_Pviiiiii.has_indirect_call, 0
	.section	.AMDGPU.csdata,"",@progbits
; Kernel info:
; codeLenInByte = 4752
; TotalNumSgprs: 23
; NumVgprs: 32
; ScratchSize: 0
; MemoryBound: 0
; FloatMode: 240
; IeeeMode: 1
; LDSByteSize: 0 bytes/workgroup (compile time only)
; SGPRBlocks: 2
; VGPRBlocks: 7
; NumSGPRsForWavesPerEU: 23
; NumVGPRsForWavesPerEU: 32
; Occupancy: 8
; WaveLimiterHint : 1
; COMPUTE_PGM_RSRC2:SCRATCH_EN: 0
; COMPUTE_PGM_RSRC2:USER_SGPR: 6
; COMPUTE_PGM_RSRC2:TRAP_HANDLER: 0
; COMPUTE_PGM_RSRC2:TGID_X_EN: 1
; COMPUTE_PGM_RSRC2:TGID_Y_EN: 0
; COMPUTE_PGM_RSRC2:TGID_Z_EN: 0
; COMPUTE_PGM_RSRC2:TIDIG_COMP_CNT: 0
	.section	.text._ZN2at6native30tinygemm_m16n8k16_chunk_kernelINS0_10ALayout_RMILNS0_14KReductionTypeE0EEENS0_15BLayout_TC_int4ILi8ELi128EEES4_Li8ELi8EEEvPKvS8_S8_Pviiiiii,"axG",@progbits,_ZN2at6native30tinygemm_m16n8k16_chunk_kernelINS0_10ALayout_RMILNS0_14KReductionTypeE0EEENS0_15BLayout_TC_int4ILi8ELi128EEES4_Li8ELi8EEEvPKvS8_S8_Pviiiiii,comdat
	.protected	_ZN2at6native30tinygemm_m16n8k16_chunk_kernelINS0_10ALayout_RMILNS0_14KReductionTypeE0EEENS0_15BLayout_TC_int4ILi8ELi128EEES4_Li8ELi8EEEvPKvS8_S8_Pviiiiii ; -- Begin function _ZN2at6native30tinygemm_m16n8k16_chunk_kernelINS0_10ALayout_RMILNS0_14KReductionTypeE0EEENS0_15BLayout_TC_int4ILi8ELi128EEES4_Li8ELi8EEEvPKvS8_S8_Pviiiiii
	.globl	_ZN2at6native30tinygemm_m16n8k16_chunk_kernelINS0_10ALayout_RMILNS0_14KReductionTypeE0EEENS0_15BLayout_TC_int4ILi8ELi128EEES4_Li8ELi8EEEvPKvS8_S8_Pviiiiii
	.p2align	8
	.type	_ZN2at6native30tinygemm_m16n8k16_chunk_kernelINS0_10ALayout_RMILNS0_14KReductionTypeE0EEENS0_15BLayout_TC_int4ILi8ELi128EEES4_Li8ELi8EEEvPKvS8_S8_Pviiiiii,@function
_ZN2at6native30tinygemm_m16n8k16_chunk_kernelINS0_10ALayout_RMILNS0_14KReductionTypeE0EEENS0_15BLayout_TC_int4ILi8ELi128EEES4_Li8ELi8EEEvPKvS8_S8_Pviiiiii: ; @_ZN2at6native30tinygemm_m16n8k16_chunk_kernelINS0_10ALayout_RMILNS0_14KReductionTypeE0EEENS0_15BLayout_TC_int4ILi8ELi128EEES4_Li8ELi8EEEvPKvS8_S8_Pviiiiii
; %bb.0:
	s_load_dwordx2 s[2:3], s[4:5], 0x88
	v_mbcnt_lo_u32_b32 v0, -1, 0
	v_mbcnt_hi_u32_b32 v30, -1, v0
	v_readfirstlane_b32 s0, v30
	v_mov_b32_e32 v5, 0
	v_mov_b32_e32 v6, 0
	v_cmp_eq_u32_e64 s[0:1], s0, v30
	s_and_saveexec_b64 s[4:5], s[0:1]
	s_cbranch_execz .LBB8_6
; %bb.1:
	v_mov_b32_e32 v0, 0
	s_waitcnt lgkmcnt(0)
	global_load_dwordx2 v[3:4], v0, s[2:3] offset:24 glc
	s_waitcnt vmcnt(0)
	buffer_wbinvl1_vol
	global_load_dwordx2 v[1:2], v0, s[2:3] offset:40
	global_load_dwordx2 v[5:6], v0, s[2:3]
	s_waitcnt vmcnt(1)
	v_and_b32_e32 v1, v1, v3
	v_and_b32_e32 v2, v2, v4
	v_mul_lo_u32 v2, v2, 24
	v_mul_hi_u32 v7, v1, 24
	v_mul_lo_u32 v1, v1, 24
	v_add_u32_e32 v2, v7, v2
	s_waitcnt vmcnt(0)
	v_add_co_u32_e32 v1, vcc, v5, v1
	v_addc_co_u32_e32 v2, vcc, v6, v2, vcc
	global_load_dwordx2 v[1:2], v[1:2], off glc
	s_waitcnt vmcnt(0)
	global_atomic_cmpswap_x2 v[5:6], v0, v[1:4], s[2:3] offset:24 glc
	s_waitcnt vmcnt(0)
	buffer_wbinvl1_vol
	v_cmp_ne_u64_e32 vcc, v[5:6], v[3:4]
	s_and_saveexec_b64 s[6:7], vcc
	s_cbranch_execz .LBB8_5
; %bb.2:
	s_mov_b64 s[8:9], 0
.LBB8_3:                                ; =>This Inner Loop Header: Depth=1
	s_sleep 1
	global_load_dwordx2 v[1:2], v0, s[2:3] offset:40
	global_load_dwordx2 v[7:8], v0, s[2:3]
	v_mov_b32_e32 v3, v5
	v_mov_b32_e32 v4, v6
	s_waitcnt vmcnt(1)
	v_and_b32_e32 v1, v1, v3
	s_waitcnt vmcnt(0)
	v_mad_u64_u32 v[5:6], s[10:11], v1, 24, v[7:8]
	v_and_b32_e32 v2, v2, v4
	v_mov_b32_e32 v1, v6
	v_mad_u64_u32 v[1:2], s[10:11], v2, 24, v[1:2]
	v_mov_b32_e32 v6, v1
	global_load_dwordx2 v[1:2], v[5:6], off glc
	s_waitcnt vmcnt(0)
	global_atomic_cmpswap_x2 v[5:6], v0, v[1:4], s[2:3] offset:24 glc
	s_waitcnt vmcnt(0)
	buffer_wbinvl1_vol
	v_cmp_eq_u64_e32 vcc, v[5:6], v[3:4]
	s_or_b64 s[8:9], vcc, s[8:9]
	s_andn2_b64 exec, exec, s[8:9]
	s_cbranch_execnz .LBB8_3
; %bb.4:
	s_or_b64 exec, exec, s[8:9]
.LBB8_5:
	s_or_b64 exec, exec, s[6:7]
.LBB8_6:
	s_or_b64 exec, exec, s[4:5]
	v_mov_b32_e32 v4, 0
	s_waitcnt lgkmcnt(0)
	global_load_dwordx2 v[7:8], v4, s[2:3] offset:40
	global_load_dwordx4 v[0:3], v4, s[2:3]
	v_readfirstlane_b32 s5, v6
	v_readfirstlane_b32 s4, v5
	s_mov_b64 s[6:7], exec
	s_waitcnt vmcnt(1)
	v_readfirstlane_b32 s8, v7
	v_readfirstlane_b32 s9, v8
	s_and_b64 s[8:9], s[8:9], s[4:5]
	s_mul_i32 s10, s9, 24
	s_mul_hi_u32 s11, s8, 24
	s_mul_i32 s12, s8, 24
	s_add_i32 s10, s11, s10
	v_mov_b32_e32 v5, s10
	s_waitcnt vmcnt(0)
	v_add_co_u32_e32 v7, vcc, s12, v0
	v_addc_co_u32_e32 v8, vcc, v1, v5, vcc
	s_and_saveexec_b64 s[10:11], s[0:1]
	s_cbranch_execz .LBB8_8
; %bb.7:
	v_mov_b32_e32 v10, s7
	v_mov_b32_e32 v9, s6
	;; [unrolled: 1-line block ×4, first 2 shown]
	global_store_dwordx4 v[7:8], v[9:12], off offset:8
.LBB8_8:
	s_or_b64 exec, exec, s[10:11]
	s_lshl_b64 s[6:7], s[8:9], 12
	v_mov_b32_e32 v5, s7
	v_add_co_u32_e32 v2, vcc, s6, v2
	v_addc_co_u32_e32 v11, vcc, v3, v5, vcc
	v_lshlrev_b32_e32 v29, 6, v30
	s_mov_b32 s8, 0
	v_mov_b32_e32 v3, 33
	v_mov_b32_e32 v5, v4
	;; [unrolled: 1-line block ×3, first 2 shown]
	v_readfirstlane_b32 s6, v2
	v_readfirstlane_b32 s7, v11
	v_add_co_u32_e32 v9, vcc, v2, v29
	s_mov_b32 s9, s8
	s_mov_b32 s10, s8
	;; [unrolled: 1-line block ×3, first 2 shown]
	s_nop 0
	global_store_dwordx4 v29, v[3:6], s[6:7]
	v_mov_b32_e32 v2, s8
	v_addc_co_u32_e32 v10, vcc, 0, v11, vcc
	v_mov_b32_e32 v3, s9
	v_mov_b32_e32 v4, s10
	;; [unrolled: 1-line block ×3, first 2 shown]
	global_store_dwordx4 v29, v[2:5], s[6:7] offset:16
	global_store_dwordx4 v29, v[2:5], s[6:7] offset:32
	;; [unrolled: 1-line block ×3, first 2 shown]
	s_and_saveexec_b64 s[6:7], s[0:1]
	s_cbranch_execz .LBB8_16
; %bb.9:
	v_mov_b32_e32 v6, 0
	global_load_dwordx2 v[13:14], v6, s[2:3] offset:32 glc
	global_load_dwordx2 v[2:3], v6, s[2:3] offset:40
	v_mov_b32_e32 v11, s4
	v_mov_b32_e32 v12, s5
	s_waitcnt vmcnt(0)
	v_and_b32_e32 v2, s4, v2
	v_and_b32_e32 v3, s5, v3
	v_mul_lo_u32 v3, v3, 24
	v_mul_hi_u32 v4, v2, 24
	v_mul_lo_u32 v2, v2, 24
	v_add_u32_e32 v3, v4, v3
	v_add_co_u32_e32 v4, vcc, v0, v2
	v_addc_co_u32_e32 v5, vcc, v1, v3, vcc
	global_store_dwordx2 v[4:5], v[13:14], off
	s_waitcnt vmcnt(0)
	global_atomic_cmpswap_x2 v[2:3], v6, v[11:14], s[2:3] offset:32 glc
	s_waitcnt vmcnt(0)
	v_cmp_ne_u64_e32 vcc, v[2:3], v[13:14]
	s_and_saveexec_b64 s[8:9], vcc
	s_cbranch_execz .LBB8_12
; %bb.10:
	s_mov_b64 s[10:11], 0
.LBB8_11:                               ; =>This Inner Loop Header: Depth=1
	s_sleep 1
	global_store_dwordx2 v[4:5], v[2:3], off
	v_mov_b32_e32 v0, s4
	v_mov_b32_e32 v1, s5
	s_waitcnt vmcnt(0)
	global_atomic_cmpswap_x2 v[0:1], v6, v[0:3], s[2:3] offset:32 glc
	s_waitcnt vmcnt(0)
	v_cmp_eq_u64_e32 vcc, v[0:1], v[2:3]
	v_mov_b32_e32 v3, v1
	s_or_b64 s[10:11], vcc, s[10:11]
	v_mov_b32_e32 v2, v0
	s_andn2_b64 exec, exec, s[10:11]
	s_cbranch_execnz .LBB8_11
.LBB8_12:
	s_or_b64 exec, exec, s[8:9]
	v_mov_b32_e32 v3, 0
	global_load_dwordx2 v[0:1], v3, s[2:3] offset:16
	s_mov_b64 s[8:9], exec
	v_mbcnt_lo_u32_b32 v2, s8, 0
	v_mbcnt_hi_u32_b32 v2, s9, v2
	v_cmp_eq_u32_e32 vcc, 0, v2
	s_and_saveexec_b64 s[10:11], vcc
	s_cbranch_execz .LBB8_14
; %bb.13:
	s_bcnt1_i32_b64 s8, s[8:9]
	v_mov_b32_e32 v2, s8
	s_waitcnt vmcnt(0)
	global_atomic_add_x2 v[0:1], v[2:3], off offset:8
.LBB8_14:
	s_or_b64 exec, exec, s[10:11]
	s_waitcnt vmcnt(0)
	global_load_dwordx2 v[2:3], v[0:1], off offset:16
	s_waitcnt vmcnt(0)
	v_cmp_eq_u64_e32 vcc, 0, v[2:3]
	s_cbranch_vccnz .LBB8_16
; %bb.15:
	global_load_dword v0, v[0:1], off offset:24
	v_mov_b32_e32 v1, 0
	s_waitcnt vmcnt(0)
	v_readfirstlane_b32 s8, v0
	s_and_b32 m0, s8, 0xffffff
	global_store_dwordx2 v[2:3], v[0:1], off
	s_sendmsg sendmsg(MSG_INTERRUPT)
.LBB8_16:
	s_or_b64 exec, exec, s[6:7]
	s_branch .LBB8_20
.LBB8_17:                               ;   in Loop: Header=BB8_20 Depth=1
	s_or_b64 exec, exec, s[6:7]
	v_readfirstlane_b32 s6, v0
	s_cmp_eq_u32 s6, 0
	s_cbranch_scc1 .LBB8_19
; %bb.18:                               ;   in Loop: Header=BB8_20 Depth=1
	s_sleep 1
	s_cbranch_execnz .LBB8_20
	s_branch .LBB8_22
.LBB8_19:
	s_branch .LBB8_22
.LBB8_20:                               ; =>This Inner Loop Header: Depth=1
	v_mov_b32_e32 v0, 1
	s_and_saveexec_b64 s[6:7], s[0:1]
	s_cbranch_execz .LBB8_17
; %bb.21:                               ;   in Loop: Header=BB8_20 Depth=1
	global_load_dword v0, v[7:8], off offset:20 glc
	s_waitcnt vmcnt(0)
	buffer_wbinvl1_vol
	v_and_b32_e32 v0, 1, v0
	s_branch .LBB8_17
.LBB8_22:
	global_load_dwordx2 v[0:1], v[9:10], off
	s_and_saveexec_b64 s[6:7], s[0:1]
	s_cbranch_execz .LBB8_25
; %bb.23:
	v_mov_b32_e32 v8, 0
	global_load_dwordx2 v[2:3], v8, s[2:3] offset:40
	global_load_dwordx2 v[11:12], v8, s[2:3] offset:24 glc
	global_load_dwordx2 v[4:5], v8, s[2:3]
	s_waitcnt vmcnt(2)
	v_readfirstlane_b32 s8, v2
	v_readfirstlane_b32 s9, v3
	s_add_u32 s10, s8, 1
	s_addc_u32 s11, s9, 0
	s_add_u32 s0, s10, s4
	s_addc_u32 s1, s11, s5
	s_cmp_eq_u64 s[0:1], 0
	s_cselect_b32 s1, s11, s1
	s_cselect_b32 s0, s10, s0
	s_and_b64 s[4:5], s[0:1], s[8:9]
	s_mul_i32 s5, s5, 24
	s_mul_hi_u32 s8, s4, 24
	s_mul_i32 s4, s4, 24
	s_add_i32 s5, s8, s5
	v_mov_b32_e32 v2, s5
	s_waitcnt vmcnt(0)
	v_add_co_u32_e32 v6, vcc, s4, v4
	v_addc_co_u32_e32 v7, vcc, v5, v2, vcc
	v_mov_b32_e32 v9, s0
	global_store_dwordx2 v[6:7], v[11:12], off
	v_mov_b32_e32 v10, s1
	s_waitcnt vmcnt(0)
	global_atomic_cmpswap_x2 v[4:5], v8, v[9:12], s[2:3] offset:24 glc
	s_mov_b64 s[4:5], 0
	s_waitcnt vmcnt(0)
	v_cmp_ne_u64_e32 vcc, v[4:5], v[11:12]
	s_and_b64 exec, exec, vcc
	s_cbranch_execz .LBB8_25
.LBB8_24:                               ; =>This Inner Loop Header: Depth=1
	s_sleep 1
	global_store_dwordx2 v[6:7], v[4:5], off
	v_mov_b32_e32 v2, s0
	v_mov_b32_e32 v3, s1
	s_waitcnt vmcnt(0)
	global_atomic_cmpswap_x2 v[2:3], v8, v[2:5], s[2:3] offset:24 glc
	s_waitcnt vmcnt(0)
	v_cmp_eq_u64_e32 vcc, v[2:3], v[4:5]
	v_mov_b32_e32 v5, v3
	s_or_b64 s[4:5], vcc, s[4:5]
	v_mov_b32_e32 v4, v2
	s_andn2_b64 exec, exec, s[4:5]
	s_cbranch_execnz .LBB8_24
.LBB8_25:
	s_or_b64 exec, exec, s[6:7]
	s_getpc_b64 s[4:5]
	s_add_u32 s4, s4, .str@rel32@lo+4
	s_addc_u32 s5, s5, .str@rel32@hi+12
	s_cmp_lg_u64 s[4:5], 0
	s_cselect_b64 s[0:1], -1, 0
	s_cmp_eq_u64 s[4:5], 0
	s_mov_b64 s[4:5], 0
	s_cbranch_scc1 .LBB8_29
; %bb.26:
	v_mov_b32_e32 v2, 0
	s_getpc_b64 s[4:5]
	s_add_u32 s4, s4, .str@rel32@lo+3
	s_addc_u32 s5, s5, .str@rel32@hi+11
.LBB8_27:                               ; =>This Inner Loop Header: Depth=1
	global_load_ubyte v3, v2, s[4:5] offset:1
	s_add_u32 s6, s4, 1
	s_addc_u32 s7, s5, 0
	s_mov_b64 s[4:5], s[6:7]
	s_waitcnt vmcnt(0)
	v_cmp_ne_u32_e32 vcc, 0, v3
	s_cbranch_vccnz .LBB8_27
; %bb.28:
	s_getpc_b64 s[4:5]
	s_add_u32 s4, s4, .str@rel32@lo+4
	s_addc_u32 s5, s5, .str@rel32@hi+12
	s_sub_u32 s4, s6, s4
	s_subb_u32 s5, s7, s5
	s_add_u32 s4, s4, 1
	s_addc_u32 s5, s5, 0
.LBB8_29:
	s_and_b64 vcc, exec, s[0:1]
	s_cbranch_vccz .LBB8_115
; %bb.30:
	s_waitcnt vmcnt(0)
	v_and_b32_e32 v6, -3, v0
	v_mov_b32_e32 v7, v1
	v_mov_b32_e32 v26, 0
	;; [unrolled: 1-line block ×4, first 2 shown]
	s_getpc_b64 s[6:7]
	s_add_u32 s6, s6, .str@rel32@lo+4
	s_addc_u32 s7, s7, .str@rel32@hi+12
	s_branch .LBB8_32
.LBB8_31:                               ;   in Loop: Header=BB8_32 Depth=1
	s_or_b64 exec, exec, s[12:13]
	s_sub_u32 s4, s4, s8
	s_subb_u32 s5, s5, s9
	s_add_u32 s6, s6, s8
	s_addc_u32 s7, s7, s9
	s_cmp_lg_u64 s[4:5], 0
	s_cbranch_scc0 .LBB8_114
.LBB8_32:                               ; =>This Loop Header: Depth=1
                                        ;     Child Loop BB8_35 Depth 2
                                        ;     Child Loop BB8_43 Depth 2
	;; [unrolled: 1-line block ×11, first 2 shown]
	v_cmp_lt_u64_e64 s[0:1], s[4:5], 56
	v_cmp_gt_u64_e64 s[10:11], s[4:5], 7
	s_and_b64 s[0:1], s[0:1], exec
	s_cselect_b32 s9, s5, 0
	s_cselect_b32 s8, s4, 56
	s_add_u32 s0, s6, 8
	s_addc_u32 s1, s7, 0
	s_and_b64 vcc, exec, s[10:11]
	s_cbranch_vccnz .LBB8_36
; %bb.33:                               ;   in Loop: Header=BB8_32 Depth=1
	s_cmp_eq_u64 s[4:5], 0
	s_cbranch_scc1 .LBB8_37
; %bb.34:                               ;   in Loop: Header=BB8_32 Depth=1
	s_waitcnt vmcnt(0)
	v_mov_b32_e32 v8, 0
	s_lshl_b64 s[0:1], s[8:9], 3
	s_mov_b64 s[10:11], 0
	v_mov_b32_e32 v9, 0
	s_mov_b64 s[12:13], s[6:7]
.LBB8_35:                               ;   Parent Loop BB8_32 Depth=1
                                        ; =>  This Inner Loop Header: Depth=2
	global_load_ubyte v2, v26, s[12:13]
	s_waitcnt vmcnt(0)
	v_and_b32_e32 v25, 0xffff, v2
	v_lshlrev_b64 v[2:3], s10, v[25:26]
	s_add_u32 s10, s10, 8
	s_addc_u32 s11, s11, 0
	s_add_u32 s12, s12, 1
	s_addc_u32 s13, s13, 0
	v_or_b32_e32 v8, v2, v8
	s_cmp_lg_u32 s0, s10
	v_or_b32_e32 v9, v3, v9
	s_cbranch_scc1 .LBB8_35
	s_branch .LBB8_38
.LBB8_36:                               ;   in Loop: Header=BB8_32 Depth=1
	s_mov_b32 s14, 0
	s_branch .LBB8_39
.LBB8_37:                               ;   in Loop: Header=BB8_32 Depth=1
	s_waitcnt vmcnt(0)
	v_mov_b32_e32 v8, 0
	v_mov_b32_e32 v9, 0
.LBB8_38:                               ;   in Loop: Header=BB8_32 Depth=1
	s_mov_b64 s[0:1], s[6:7]
	s_mov_b32 s14, 0
	s_cbranch_execnz .LBB8_40
.LBB8_39:                               ;   in Loop: Header=BB8_32 Depth=1
	global_load_dwordx2 v[8:9], v26, s[6:7]
	s_add_i32 s14, s8, -8
.LBB8_40:                               ;   in Loop: Header=BB8_32 Depth=1
	s_add_u32 s10, s0, 8
	s_addc_u32 s11, s1, 0
	s_cmp_gt_u32 s14, 7
	s_cbranch_scc1 .LBB8_44
; %bb.41:                               ;   in Loop: Header=BB8_32 Depth=1
	s_cmp_eq_u32 s14, 0
	s_cbranch_scc1 .LBB8_45
; %bb.42:                               ;   in Loop: Header=BB8_32 Depth=1
	v_mov_b32_e32 v10, 0
	s_mov_b64 s[10:11], 0
	v_mov_b32_e32 v11, 0
	s_mov_b64 s[12:13], 0
.LBB8_43:                               ;   Parent Loop BB8_32 Depth=1
                                        ; =>  This Inner Loop Header: Depth=2
	s_add_u32 s16, s0, s12
	s_addc_u32 s17, s1, s13
	global_load_ubyte v2, v26, s[16:17]
	s_add_u32 s12, s12, 1
	s_addc_u32 s13, s13, 0
	s_waitcnt vmcnt(0)
	v_and_b32_e32 v25, 0xffff, v2
	v_lshlrev_b64 v[2:3], s10, v[25:26]
	s_add_u32 s10, s10, 8
	s_addc_u32 s11, s11, 0
	v_or_b32_e32 v10, v2, v10
	s_cmp_lg_u32 s14, s12
	v_or_b32_e32 v11, v3, v11
	s_cbranch_scc1 .LBB8_43
	s_branch .LBB8_46
.LBB8_44:                               ;   in Loop: Header=BB8_32 Depth=1
                                        ; implicit-def: $vgpr10_vgpr11
	s_mov_b32 s15, 0
	s_branch .LBB8_47
.LBB8_45:                               ;   in Loop: Header=BB8_32 Depth=1
	v_mov_b32_e32 v10, 0
	v_mov_b32_e32 v11, 0
.LBB8_46:                               ;   in Loop: Header=BB8_32 Depth=1
	s_mov_b64 s[10:11], s[0:1]
	s_mov_b32 s15, 0
	s_cbranch_execnz .LBB8_48
.LBB8_47:                               ;   in Loop: Header=BB8_32 Depth=1
	global_load_dwordx2 v[10:11], v26, s[0:1]
	s_add_i32 s15, s14, -8
.LBB8_48:                               ;   in Loop: Header=BB8_32 Depth=1
	s_add_u32 s0, s10, 8
	s_addc_u32 s1, s11, 0
	s_cmp_gt_u32 s15, 7
	s_cbranch_scc1 .LBB8_52
; %bb.49:                               ;   in Loop: Header=BB8_32 Depth=1
	s_cmp_eq_u32 s15, 0
	s_cbranch_scc1 .LBB8_53
; %bb.50:                               ;   in Loop: Header=BB8_32 Depth=1
	v_mov_b32_e32 v12, 0
	s_mov_b64 s[0:1], 0
	v_mov_b32_e32 v13, 0
	s_mov_b64 s[12:13], 0
.LBB8_51:                               ;   Parent Loop BB8_32 Depth=1
                                        ; =>  This Inner Loop Header: Depth=2
	s_add_u32 s16, s10, s12
	s_addc_u32 s17, s11, s13
	global_load_ubyte v2, v26, s[16:17]
	s_add_u32 s12, s12, 1
	s_addc_u32 s13, s13, 0
	s_waitcnt vmcnt(0)
	v_and_b32_e32 v25, 0xffff, v2
	v_lshlrev_b64 v[2:3], s0, v[25:26]
	s_add_u32 s0, s0, 8
	s_addc_u32 s1, s1, 0
	v_or_b32_e32 v12, v2, v12
	s_cmp_lg_u32 s15, s12
	v_or_b32_e32 v13, v3, v13
	s_cbranch_scc1 .LBB8_51
	s_branch .LBB8_54
.LBB8_52:                               ;   in Loop: Header=BB8_32 Depth=1
	s_mov_b32 s14, 0
	s_branch .LBB8_55
.LBB8_53:                               ;   in Loop: Header=BB8_32 Depth=1
	v_mov_b32_e32 v12, 0
	v_mov_b32_e32 v13, 0
.LBB8_54:                               ;   in Loop: Header=BB8_32 Depth=1
	s_mov_b64 s[0:1], s[10:11]
	s_mov_b32 s14, 0
	s_cbranch_execnz .LBB8_56
.LBB8_55:                               ;   in Loop: Header=BB8_32 Depth=1
	global_load_dwordx2 v[12:13], v26, s[10:11]
	s_add_i32 s14, s15, -8
.LBB8_56:                               ;   in Loop: Header=BB8_32 Depth=1
	s_add_u32 s10, s0, 8
	s_addc_u32 s11, s1, 0
	s_cmp_gt_u32 s14, 7
	s_cbranch_scc1 .LBB8_60
; %bb.57:                               ;   in Loop: Header=BB8_32 Depth=1
	s_cmp_eq_u32 s14, 0
	s_cbranch_scc1 .LBB8_61
; %bb.58:                               ;   in Loop: Header=BB8_32 Depth=1
	v_mov_b32_e32 v14, 0
	s_mov_b64 s[10:11], 0
	v_mov_b32_e32 v15, 0
	s_mov_b64 s[12:13], 0
.LBB8_59:                               ;   Parent Loop BB8_32 Depth=1
                                        ; =>  This Inner Loop Header: Depth=2
	s_add_u32 s16, s0, s12
	s_addc_u32 s17, s1, s13
	global_load_ubyte v2, v26, s[16:17]
	s_add_u32 s12, s12, 1
	s_addc_u32 s13, s13, 0
	s_waitcnt vmcnt(0)
	v_and_b32_e32 v25, 0xffff, v2
	v_lshlrev_b64 v[2:3], s10, v[25:26]
	s_add_u32 s10, s10, 8
	s_addc_u32 s11, s11, 0
	v_or_b32_e32 v14, v2, v14
	s_cmp_lg_u32 s14, s12
	v_or_b32_e32 v15, v3, v15
	s_cbranch_scc1 .LBB8_59
	s_branch .LBB8_62
.LBB8_60:                               ;   in Loop: Header=BB8_32 Depth=1
                                        ; implicit-def: $vgpr14_vgpr15
	s_mov_b32 s15, 0
	s_branch .LBB8_63
.LBB8_61:                               ;   in Loop: Header=BB8_32 Depth=1
	v_mov_b32_e32 v14, 0
	v_mov_b32_e32 v15, 0
.LBB8_62:                               ;   in Loop: Header=BB8_32 Depth=1
	s_mov_b64 s[10:11], s[0:1]
	s_mov_b32 s15, 0
	s_cbranch_execnz .LBB8_64
.LBB8_63:                               ;   in Loop: Header=BB8_32 Depth=1
	global_load_dwordx2 v[14:15], v26, s[0:1]
	s_add_i32 s15, s14, -8
.LBB8_64:                               ;   in Loop: Header=BB8_32 Depth=1
	s_add_u32 s0, s10, 8
	s_addc_u32 s1, s11, 0
	s_cmp_gt_u32 s15, 7
	s_cbranch_scc1 .LBB8_68
; %bb.65:                               ;   in Loop: Header=BB8_32 Depth=1
	s_cmp_eq_u32 s15, 0
	s_cbranch_scc1 .LBB8_69
; %bb.66:                               ;   in Loop: Header=BB8_32 Depth=1
	v_mov_b32_e32 v16, 0
	s_mov_b64 s[0:1], 0
	v_mov_b32_e32 v17, 0
	s_mov_b64 s[12:13], 0
.LBB8_67:                               ;   Parent Loop BB8_32 Depth=1
                                        ; =>  This Inner Loop Header: Depth=2
	s_add_u32 s16, s10, s12
	s_addc_u32 s17, s11, s13
	global_load_ubyte v2, v26, s[16:17]
	s_add_u32 s12, s12, 1
	s_addc_u32 s13, s13, 0
	s_waitcnt vmcnt(0)
	v_and_b32_e32 v25, 0xffff, v2
	v_lshlrev_b64 v[2:3], s0, v[25:26]
	s_add_u32 s0, s0, 8
	s_addc_u32 s1, s1, 0
	v_or_b32_e32 v16, v2, v16
	s_cmp_lg_u32 s15, s12
	v_or_b32_e32 v17, v3, v17
	s_cbranch_scc1 .LBB8_67
	s_branch .LBB8_70
.LBB8_68:                               ;   in Loop: Header=BB8_32 Depth=1
	s_mov_b32 s14, 0
	s_branch .LBB8_71
.LBB8_69:                               ;   in Loop: Header=BB8_32 Depth=1
	v_mov_b32_e32 v16, 0
	v_mov_b32_e32 v17, 0
.LBB8_70:                               ;   in Loop: Header=BB8_32 Depth=1
	s_mov_b64 s[0:1], s[10:11]
	s_mov_b32 s14, 0
	s_cbranch_execnz .LBB8_72
.LBB8_71:                               ;   in Loop: Header=BB8_32 Depth=1
	global_load_dwordx2 v[16:17], v26, s[10:11]
	s_add_i32 s14, s15, -8
.LBB8_72:                               ;   in Loop: Header=BB8_32 Depth=1
	s_add_u32 s10, s0, 8
	s_addc_u32 s11, s1, 0
	s_cmp_gt_u32 s14, 7
	s_cbranch_scc1 .LBB8_76
; %bb.73:                               ;   in Loop: Header=BB8_32 Depth=1
	s_cmp_eq_u32 s14, 0
	s_cbranch_scc1 .LBB8_77
; %bb.74:                               ;   in Loop: Header=BB8_32 Depth=1
	v_mov_b32_e32 v18, 0
	s_mov_b64 s[10:11], 0
	v_mov_b32_e32 v19, 0
	s_mov_b64 s[12:13], 0
.LBB8_75:                               ;   Parent Loop BB8_32 Depth=1
                                        ; =>  This Inner Loop Header: Depth=2
	s_add_u32 s16, s0, s12
	s_addc_u32 s17, s1, s13
	global_load_ubyte v2, v26, s[16:17]
	s_add_u32 s12, s12, 1
	s_addc_u32 s13, s13, 0
	s_waitcnt vmcnt(0)
	v_and_b32_e32 v25, 0xffff, v2
	v_lshlrev_b64 v[2:3], s10, v[25:26]
	s_add_u32 s10, s10, 8
	s_addc_u32 s11, s11, 0
	v_or_b32_e32 v18, v2, v18
	s_cmp_lg_u32 s14, s12
	v_or_b32_e32 v19, v3, v19
	s_cbranch_scc1 .LBB8_75
	s_branch .LBB8_78
.LBB8_76:                               ;   in Loop: Header=BB8_32 Depth=1
                                        ; implicit-def: $vgpr18_vgpr19
	s_mov_b32 s15, 0
	s_branch .LBB8_79
.LBB8_77:                               ;   in Loop: Header=BB8_32 Depth=1
	v_mov_b32_e32 v18, 0
	v_mov_b32_e32 v19, 0
.LBB8_78:                               ;   in Loop: Header=BB8_32 Depth=1
	s_mov_b64 s[10:11], s[0:1]
	s_mov_b32 s15, 0
	s_cbranch_execnz .LBB8_80
.LBB8_79:                               ;   in Loop: Header=BB8_32 Depth=1
	global_load_dwordx2 v[18:19], v26, s[0:1]
	s_add_i32 s15, s14, -8
.LBB8_80:                               ;   in Loop: Header=BB8_32 Depth=1
	s_cmp_gt_u32 s15, 7
	s_cbranch_scc1 .LBB8_84
; %bb.81:                               ;   in Loop: Header=BB8_32 Depth=1
	s_cmp_eq_u32 s15, 0
	s_cbranch_scc1 .LBB8_85
; %bb.82:                               ;   in Loop: Header=BB8_32 Depth=1
	v_mov_b32_e32 v20, 0
	s_mov_b64 s[0:1], 0
	v_mov_b32_e32 v21, 0
	s_mov_b64 s[12:13], s[10:11]
.LBB8_83:                               ;   Parent Loop BB8_32 Depth=1
                                        ; =>  This Inner Loop Header: Depth=2
	global_load_ubyte v2, v26, s[12:13]
	s_add_i32 s15, s15, -1
	s_waitcnt vmcnt(0)
	v_and_b32_e32 v25, 0xffff, v2
	v_lshlrev_b64 v[2:3], s0, v[25:26]
	s_add_u32 s0, s0, 8
	s_addc_u32 s1, s1, 0
	s_add_u32 s12, s12, 1
	s_addc_u32 s13, s13, 0
	v_or_b32_e32 v20, v2, v20
	s_cmp_lg_u32 s15, 0
	v_or_b32_e32 v21, v3, v21
	s_cbranch_scc1 .LBB8_83
	s_branch .LBB8_86
.LBB8_84:                               ;   in Loop: Header=BB8_32 Depth=1
	s_branch .LBB8_87
.LBB8_85:                               ;   in Loop: Header=BB8_32 Depth=1
	v_mov_b32_e32 v20, 0
	v_mov_b32_e32 v21, 0
.LBB8_86:                               ;   in Loop: Header=BB8_32 Depth=1
	s_cbranch_execnz .LBB8_88
.LBB8_87:                               ;   in Loop: Header=BB8_32 Depth=1
	global_load_dwordx2 v[20:21], v26, s[10:11]
.LBB8_88:                               ;   in Loop: Header=BB8_32 Depth=1
	v_readfirstlane_b32 s0, v30
	v_mov_b32_e32 v2, 0
	v_mov_b32_e32 v3, 0
	v_cmp_eq_u32_e64 s[0:1], s0, v30
	s_and_saveexec_b64 s[10:11], s[0:1]
	s_cbranch_execz .LBB8_94
; %bb.89:                               ;   in Loop: Header=BB8_32 Depth=1
	global_load_dwordx2 v[24:25], v26, s[2:3] offset:24 glc
	s_waitcnt vmcnt(0)
	buffer_wbinvl1_vol
	global_load_dwordx2 v[2:3], v26, s[2:3] offset:40
	global_load_dwordx2 v[22:23], v26, s[2:3]
	s_waitcnt vmcnt(1)
	v_and_b32_e32 v2, v2, v24
	v_and_b32_e32 v3, v3, v25
	v_mul_lo_u32 v3, v3, 24
	v_mul_hi_u32 v27, v2, 24
	v_mul_lo_u32 v2, v2, 24
	v_add_u32_e32 v3, v27, v3
	s_waitcnt vmcnt(0)
	v_add_co_u32_e32 v2, vcc, v22, v2
	v_addc_co_u32_e32 v3, vcc, v23, v3, vcc
	global_load_dwordx2 v[22:23], v[2:3], off glc
	s_waitcnt vmcnt(0)
	global_atomic_cmpswap_x2 v[2:3], v26, v[22:25], s[2:3] offset:24 glc
	s_waitcnt vmcnt(0)
	buffer_wbinvl1_vol
	v_cmp_ne_u64_e32 vcc, v[2:3], v[24:25]
	s_and_saveexec_b64 s[12:13], vcc
	s_cbranch_execz .LBB8_93
; %bb.90:                               ;   in Loop: Header=BB8_32 Depth=1
	s_mov_b64 s[14:15], 0
.LBB8_91:                               ;   Parent Loop BB8_32 Depth=1
                                        ; =>  This Inner Loop Header: Depth=2
	s_sleep 1
	global_load_dwordx2 v[22:23], v26, s[2:3] offset:40
	global_load_dwordx2 v[27:28], v26, s[2:3]
	v_mov_b32_e32 v25, v3
	v_mov_b32_e32 v24, v2
	s_waitcnt vmcnt(1)
	v_and_b32_e32 v2, v22, v24
	s_waitcnt vmcnt(0)
	v_mad_u64_u32 v[2:3], s[16:17], v2, 24, v[27:28]
	v_and_b32_e32 v22, v23, v25
	v_mad_u64_u32 v[22:23], s[16:17], v22, 24, v[3:4]
	v_mov_b32_e32 v3, v22
	global_load_dwordx2 v[22:23], v[2:3], off glc
	s_waitcnt vmcnt(0)
	global_atomic_cmpswap_x2 v[2:3], v26, v[22:25], s[2:3] offset:24 glc
	s_waitcnt vmcnt(0)
	buffer_wbinvl1_vol
	v_cmp_eq_u64_e32 vcc, v[2:3], v[24:25]
	s_or_b64 s[14:15], vcc, s[14:15]
	s_andn2_b64 exec, exec, s[14:15]
	s_cbranch_execnz .LBB8_91
; %bb.92:                               ;   in Loop: Header=BB8_32 Depth=1
	s_or_b64 exec, exec, s[14:15]
.LBB8_93:                               ;   in Loop: Header=BB8_32 Depth=1
	s_or_b64 exec, exec, s[12:13]
.LBB8_94:                               ;   in Loop: Header=BB8_32 Depth=1
	s_or_b64 exec, exec, s[10:11]
	global_load_dwordx2 v[27:28], v26, s[2:3] offset:40
	global_load_dwordx4 v[22:25], v26, s[2:3]
	v_readfirstlane_b32 s11, v3
	v_readfirstlane_b32 s10, v2
	s_mov_b64 s[12:13], exec
	s_waitcnt vmcnt(1)
	v_readfirstlane_b32 s14, v27
	v_readfirstlane_b32 s15, v28
	s_and_b64 s[14:15], s[14:15], s[10:11]
	s_mul_i32 s16, s15, 24
	s_mul_hi_u32 s17, s14, 24
	s_mul_i32 s18, s14, 24
	s_add_i32 s16, s17, s16
	v_mov_b32_e32 v2, s16
	s_waitcnt vmcnt(0)
	v_add_co_u32_e32 v27, vcc, s18, v22
	v_addc_co_u32_e32 v28, vcc, v23, v2, vcc
	s_and_saveexec_b64 s[16:17], s[0:1]
	s_cbranch_execz .LBB8_96
; %bb.95:                               ;   in Loop: Header=BB8_32 Depth=1
	v_mov_b32_e32 v2, s12
	v_mov_b32_e32 v3, s13
	global_store_dwordx4 v[27:28], v[2:5], off offset:8
.LBB8_96:                               ;   in Loop: Header=BB8_32 Depth=1
	s_or_b64 exec, exec, s[16:17]
	s_lshl_b64 s[12:13], s[14:15], 12
	v_cmp_gt_u64_e64 s[14:15], s[4:5], 56
	v_mov_b32_e32 v2, s13
	v_add_co_u32_e32 v24, vcc, s12, v24
	s_and_b64 s[12:13], s[14:15], exec
	s_cselect_b32 s12, 0, 2
	s_lshl_b32 s13, s8, 2
	v_addc_co_u32_e32 v31, vcc, v25, v2, vcc
	s_add_i32 s13, s13, 28
	v_and_b32_e32 v2, 0xffffff1f, v6
	s_and_b32 s13, s13, 0x1e0
	v_or_b32_e32 v2, s12, v2
	v_or_b32_e32 v6, s13, v2
	v_readfirstlane_b32 s12, v24
	v_readfirstlane_b32 s13, v31
	s_nop 4
	global_store_dwordx4 v29, v[6:9], s[12:13]
	global_store_dwordx4 v29, v[10:13], s[12:13] offset:16
	global_store_dwordx4 v29, v[14:17], s[12:13] offset:32
	;; [unrolled: 1-line block ×3, first 2 shown]
	s_and_saveexec_b64 s[12:13], s[0:1]
	s_cbranch_execz .LBB8_104
; %bb.97:                               ;   in Loop: Header=BB8_32 Depth=1
	global_load_dwordx2 v[10:11], v26, s[2:3] offset:32 glc
	global_load_dwordx2 v[2:3], v26, s[2:3] offset:40
	v_mov_b32_e32 v8, s10
	v_mov_b32_e32 v9, s11
	s_waitcnt vmcnt(0)
	v_readfirstlane_b32 s14, v2
	v_readfirstlane_b32 s15, v3
	s_and_b64 s[14:15], s[14:15], s[10:11]
	s_mul_i32 s15, s15, 24
	s_mul_hi_u32 s16, s14, 24
	s_mul_i32 s14, s14, 24
	s_add_i32 s15, s16, s15
	v_mov_b32_e32 v3, s15
	v_add_co_u32_e32 v2, vcc, s14, v22
	v_addc_co_u32_e32 v3, vcc, v23, v3, vcc
	global_store_dwordx2 v[2:3], v[10:11], off
	s_waitcnt vmcnt(0)
	global_atomic_cmpswap_x2 v[8:9], v26, v[8:11], s[2:3] offset:32 glc
	s_waitcnt vmcnt(0)
	v_cmp_ne_u64_e32 vcc, v[8:9], v[10:11]
	s_and_saveexec_b64 s[14:15], vcc
	s_cbranch_execz .LBB8_100
; %bb.98:                               ;   in Loop: Header=BB8_32 Depth=1
	s_mov_b64 s[16:17], 0
.LBB8_99:                               ;   Parent Loop BB8_32 Depth=1
                                        ; =>  This Inner Loop Header: Depth=2
	s_sleep 1
	global_store_dwordx2 v[2:3], v[8:9], off
	v_mov_b32_e32 v6, s10
	v_mov_b32_e32 v7, s11
	s_waitcnt vmcnt(0)
	global_atomic_cmpswap_x2 v[6:7], v26, v[6:9], s[2:3] offset:32 glc
	s_waitcnt vmcnt(0)
	v_cmp_eq_u64_e32 vcc, v[6:7], v[8:9]
	v_mov_b32_e32 v9, v7
	s_or_b64 s[16:17], vcc, s[16:17]
	v_mov_b32_e32 v8, v6
	s_andn2_b64 exec, exec, s[16:17]
	s_cbranch_execnz .LBB8_99
.LBB8_100:                              ;   in Loop: Header=BB8_32 Depth=1
	s_or_b64 exec, exec, s[14:15]
	global_load_dwordx2 v[2:3], v26, s[2:3] offset:16
	s_mov_b64 s[16:17], exec
	v_mbcnt_lo_u32_b32 v6, s16, 0
	v_mbcnt_hi_u32_b32 v6, s17, v6
	v_cmp_eq_u32_e32 vcc, 0, v6
	s_and_saveexec_b64 s[14:15], vcc
	s_cbranch_execz .LBB8_102
; %bb.101:                              ;   in Loop: Header=BB8_32 Depth=1
	s_bcnt1_i32_b64 s16, s[16:17]
	v_mov_b32_e32 v25, s16
	s_waitcnt vmcnt(0)
	global_atomic_add_x2 v[2:3], v[25:26], off offset:8
.LBB8_102:                              ;   in Loop: Header=BB8_32 Depth=1
	s_or_b64 exec, exec, s[14:15]
	s_waitcnt vmcnt(0)
	global_load_dwordx2 v[6:7], v[2:3], off offset:16
	s_waitcnt vmcnt(0)
	v_cmp_eq_u64_e32 vcc, 0, v[6:7]
	s_cbranch_vccnz .LBB8_104
; %bb.103:                              ;   in Loop: Header=BB8_32 Depth=1
	global_load_dword v25, v[2:3], off offset:24
	s_waitcnt vmcnt(0)
	v_readfirstlane_b32 s14, v25
	s_and_b32 m0, s14, 0xffffff
	global_store_dwordx2 v[6:7], v[25:26], off
	s_sendmsg sendmsg(MSG_INTERRUPT)
.LBB8_104:                              ;   in Loop: Header=BB8_32 Depth=1
	s_or_b64 exec, exec, s[12:13]
	v_add_co_u32_e32 v2, vcc, v24, v29
	v_addc_co_u32_e32 v3, vcc, 0, v31, vcc
	s_branch .LBB8_108
.LBB8_105:                              ;   in Loop: Header=BB8_108 Depth=2
	s_or_b64 exec, exec, s[12:13]
	v_readfirstlane_b32 s12, v6
	s_cmp_eq_u32 s12, 0
	s_cbranch_scc1 .LBB8_107
; %bb.106:                              ;   in Loop: Header=BB8_108 Depth=2
	s_sleep 1
	s_cbranch_execnz .LBB8_108
	s_branch .LBB8_110
.LBB8_107:                              ;   in Loop: Header=BB8_32 Depth=1
	s_branch .LBB8_110
.LBB8_108:                              ;   Parent Loop BB8_32 Depth=1
                                        ; =>  This Inner Loop Header: Depth=2
	v_mov_b32_e32 v6, 1
	s_and_saveexec_b64 s[12:13], s[0:1]
	s_cbranch_execz .LBB8_105
; %bb.109:                              ;   in Loop: Header=BB8_108 Depth=2
	global_load_dword v6, v[27:28], off offset:20 glc
	s_waitcnt vmcnt(0)
	buffer_wbinvl1_vol
	v_and_b32_e32 v6, 1, v6
	s_branch .LBB8_105
.LBB8_110:                              ;   in Loop: Header=BB8_32 Depth=1
	global_load_dwordx4 v[6:9], v[2:3], off
	s_and_saveexec_b64 s[12:13], s[0:1]
	s_cbranch_execz .LBB8_31
; %bb.111:                              ;   in Loop: Header=BB8_32 Depth=1
	global_load_dwordx2 v[2:3], v26, s[2:3] offset:40
	global_load_dwordx2 v[12:13], v26, s[2:3] offset:24 glc
	global_load_dwordx2 v[8:9], v26, s[2:3]
	s_waitcnt vmcnt(2)
	v_readfirstlane_b32 s14, v2
	v_readfirstlane_b32 s15, v3
	s_add_u32 s16, s14, 1
	s_addc_u32 s17, s15, 0
	s_add_u32 s0, s16, s10
	s_addc_u32 s1, s17, s11
	s_cmp_eq_u64 s[0:1], 0
	s_cselect_b32 s1, s17, s1
	s_cselect_b32 s0, s16, s0
	s_and_b64 s[10:11], s[0:1], s[14:15]
	s_mul_i32 s11, s11, 24
	s_mul_hi_u32 s14, s10, 24
	s_mul_i32 s10, s10, 24
	s_add_i32 s11, s14, s11
	v_mov_b32_e32 v3, s11
	s_waitcnt vmcnt(0)
	v_add_co_u32_e32 v2, vcc, s10, v8
	v_addc_co_u32_e32 v3, vcc, v9, v3, vcc
	v_mov_b32_e32 v10, s0
	global_store_dwordx2 v[2:3], v[12:13], off
	v_mov_b32_e32 v11, s1
	s_waitcnt vmcnt(0)
	global_atomic_cmpswap_x2 v[10:11], v26, v[10:13], s[2:3] offset:24 glc
	s_waitcnt vmcnt(0)
	v_cmp_ne_u64_e32 vcc, v[10:11], v[12:13]
	s_and_b64 exec, exec, vcc
	s_cbranch_execz .LBB8_31
; %bb.112:                              ;   in Loop: Header=BB8_32 Depth=1
	s_mov_b64 s[10:11], 0
.LBB8_113:                              ;   Parent Loop BB8_32 Depth=1
                                        ; =>  This Inner Loop Header: Depth=2
	s_sleep 1
	global_store_dwordx2 v[2:3], v[10:11], off
	v_mov_b32_e32 v8, s0
	v_mov_b32_e32 v9, s1
	s_waitcnt vmcnt(0)
	global_atomic_cmpswap_x2 v[8:9], v26, v[8:11], s[2:3] offset:24 glc
	s_waitcnt vmcnt(0)
	v_cmp_eq_u64_e32 vcc, v[8:9], v[10:11]
	v_mov_b32_e32 v11, v9
	s_or_b64 s[10:11], vcc, s[10:11]
	v_mov_b32_e32 v10, v8
	s_andn2_b64 exec, exec, s[10:11]
	s_cbranch_execnz .LBB8_113
	s_branch .LBB8_31
.LBB8_114:
	s_branch .LBB8_141
.LBB8_115:
	s_cbranch_execz .LBB8_141
; %bb.116:
	v_readfirstlane_b32 s0, v30
	s_waitcnt vmcnt(0)
	v_mov_b32_e32 v8, 0
	v_mov_b32_e32 v9, 0
	v_cmp_eq_u32_e64 s[0:1], s0, v30
	s_and_saveexec_b64 s[4:5], s[0:1]
	s_cbranch_execz .LBB8_122
; %bb.117:
	v_mov_b32_e32 v2, 0
	global_load_dwordx2 v[5:6], v2, s[2:3] offset:24 glc
	s_waitcnt vmcnt(0)
	buffer_wbinvl1_vol
	global_load_dwordx2 v[3:4], v2, s[2:3] offset:40
	global_load_dwordx2 v[7:8], v2, s[2:3]
	s_waitcnt vmcnt(1)
	v_and_b32_e32 v3, v3, v5
	v_and_b32_e32 v4, v4, v6
	v_mul_lo_u32 v4, v4, 24
	v_mul_hi_u32 v9, v3, 24
	v_mul_lo_u32 v3, v3, 24
	v_add_u32_e32 v4, v9, v4
	s_waitcnt vmcnt(0)
	v_add_co_u32_e32 v3, vcc, v7, v3
	v_addc_co_u32_e32 v4, vcc, v8, v4, vcc
	global_load_dwordx2 v[3:4], v[3:4], off glc
	s_waitcnt vmcnt(0)
	global_atomic_cmpswap_x2 v[8:9], v2, v[3:6], s[2:3] offset:24 glc
	s_waitcnt vmcnt(0)
	buffer_wbinvl1_vol
	v_cmp_ne_u64_e32 vcc, v[8:9], v[5:6]
	s_and_saveexec_b64 s[6:7], vcc
	s_cbranch_execz .LBB8_121
; %bb.118:
	s_mov_b64 s[8:9], 0
.LBB8_119:                              ; =>This Inner Loop Header: Depth=1
	s_sleep 1
	global_load_dwordx2 v[3:4], v2, s[2:3] offset:40
	global_load_dwordx2 v[10:11], v2, s[2:3]
	v_mov_b32_e32 v5, v8
	v_mov_b32_e32 v6, v9
	s_waitcnt vmcnt(1)
	v_and_b32_e32 v3, v3, v5
	s_waitcnt vmcnt(0)
	v_mad_u64_u32 v[7:8], s[10:11], v3, 24, v[10:11]
	v_and_b32_e32 v4, v4, v6
	v_mov_b32_e32 v3, v8
	v_mad_u64_u32 v[3:4], s[10:11], v4, 24, v[3:4]
	v_mov_b32_e32 v8, v3
	global_load_dwordx2 v[3:4], v[7:8], off glc
	s_waitcnt vmcnt(0)
	global_atomic_cmpswap_x2 v[8:9], v2, v[3:6], s[2:3] offset:24 glc
	s_waitcnt vmcnt(0)
	buffer_wbinvl1_vol
	v_cmp_eq_u64_e32 vcc, v[8:9], v[5:6]
	s_or_b64 s[8:9], vcc, s[8:9]
	s_andn2_b64 exec, exec, s[8:9]
	s_cbranch_execnz .LBB8_119
; %bb.120:
	s_or_b64 exec, exec, s[8:9]
.LBB8_121:
	s_or_b64 exec, exec, s[6:7]
.LBB8_122:
	s_or_b64 exec, exec, s[4:5]
	v_mov_b32_e32 v2, 0
	global_load_dwordx2 v[10:11], v2, s[2:3] offset:40
	global_load_dwordx4 v[4:7], v2, s[2:3]
	v_readfirstlane_b32 s5, v9
	v_readfirstlane_b32 s4, v8
	s_mov_b64 s[6:7], exec
	s_waitcnt vmcnt(1)
	v_readfirstlane_b32 s8, v10
	v_readfirstlane_b32 s9, v11
	s_and_b64 s[8:9], s[8:9], s[4:5]
	s_mul_i32 s10, s9, 24
	s_mul_hi_u32 s11, s8, 24
	s_mul_i32 s12, s8, 24
	s_add_i32 s10, s11, s10
	v_mov_b32_e32 v3, s10
	s_waitcnt vmcnt(0)
	v_add_co_u32_e32 v8, vcc, s12, v4
	v_addc_co_u32_e32 v9, vcc, v5, v3, vcc
	s_and_saveexec_b64 s[10:11], s[0:1]
	s_cbranch_execz .LBB8_124
; %bb.123:
	v_mov_b32_e32 v11, s7
	v_mov_b32_e32 v10, s6
	;; [unrolled: 1-line block ×4, first 2 shown]
	global_store_dwordx4 v[8:9], v[10:13], off offset:8
.LBB8_124:
	s_or_b64 exec, exec, s[10:11]
	s_lshl_b64 s[6:7], s[8:9], 12
	v_mov_b32_e32 v3, s7
	v_add_co_u32_e32 v6, vcc, s6, v6
	v_addc_co_u32_e32 v7, vcc, v7, v3, vcc
	s_movk_i32 s6, 0xff1d
	v_and_or_b32 v0, v0, s6, 34
	s_mov_b32 s8, 0
	v_mov_b32_e32 v3, v2
	v_readfirstlane_b32 s6, v6
	v_readfirstlane_b32 s7, v7
	s_mov_b32 s9, s8
	s_mov_b32 s10, s8
	;; [unrolled: 1-line block ×3, first 2 shown]
	s_nop 1
	global_store_dwordx4 v29, v[0:3], s[6:7]
	s_nop 0
	v_mov_b32_e32 v0, s8
	v_mov_b32_e32 v1, s9
	;; [unrolled: 1-line block ×4, first 2 shown]
	global_store_dwordx4 v29, v[0:3], s[6:7] offset:16
	global_store_dwordx4 v29, v[0:3], s[6:7] offset:32
	;; [unrolled: 1-line block ×3, first 2 shown]
	s_and_saveexec_b64 s[6:7], s[0:1]
	s_cbranch_execz .LBB8_132
; %bb.125:
	v_mov_b32_e32 v6, 0
	global_load_dwordx2 v[12:13], v6, s[2:3] offset:32 glc
	global_load_dwordx2 v[0:1], v6, s[2:3] offset:40
	v_mov_b32_e32 v10, s4
	v_mov_b32_e32 v11, s5
	s_waitcnt vmcnt(0)
	v_readfirstlane_b32 s8, v0
	v_readfirstlane_b32 s9, v1
	s_and_b64 s[8:9], s[8:9], s[4:5]
	s_mul_i32 s9, s9, 24
	s_mul_hi_u32 s10, s8, 24
	s_mul_i32 s8, s8, 24
	s_add_i32 s9, s10, s9
	v_mov_b32_e32 v0, s9
	v_add_co_u32_e32 v4, vcc, s8, v4
	v_addc_co_u32_e32 v5, vcc, v5, v0, vcc
	global_store_dwordx2 v[4:5], v[12:13], off
	s_waitcnt vmcnt(0)
	global_atomic_cmpswap_x2 v[2:3], v6, v[10:13], s[2:3] offset:32 glc
	s_waitcnt vmcnt(0)
	v_cmp_ne_u64_e32 vcc, v[2:3], v[12:13]
	s_and_saveexec_b64 s[8:9], vcc
	s_cbranch_execz .LBB8_128
; %bb.126:
	s_mov_b64 s[10:11], 0
.LBB8_127:                              ; =>This Inner Loop Header: Depth=1
	s_sleep 1
	global_store_dwordx2 v[4:5], v[2:3], off
	v_mov_b32_e32 v0, s4
	v_mov_b32_e32 v1, s5
	s_waitcnt vmcnt(0)
	global_atomic_cmpswap_x2 v[0:1], v6, v[0:3], s[2:3] offset:32 glc
	s_waitcnt vmcnt(0)
	v_cmp_eq_u64_e32 vcc, v[0:1], v[2:3]
	v_mov_b32_e32 v3, v1
	s_or_b64 s[10:11], vcc, s[10:11]
	v_mov_b32_e32 v2, v0
	s_andn2_b64 exec, exec, s[10:11]
	s_cbranch_execnz .LBB8_127
.LBB8_128:
	s_or_b64 exec, exec, s[8:9]
	v_mov_b32_e32 v3, 0
	global_load_dwordx2 v[0:1], v3, s[2:3] offset:16
	s_mov_b64 s[8:9], exec
	v_mbcnt_lo_u32_b32 v2, s8, 0
	v_mbcnt_hi_u32_b32 v2, s9, v2
	v_cmp_eq_u32_e32 vcc, 0, v2
	s_and_saveexec_b64 s[10:11], vcc
	s_cbranch_execz .LBB8_130
; %bb.129:
	s_bcnt1_i32_b64 s8, s[8:9]
	v_mov_b32_e32 v2, s8
	s_waitcnt vmcnt(0)
	global_atomic_add_x2 v[0:1], v[2:3], off offset:8
.LBB8_130:
	s_or_b64 exec, exec, s[10:11]
	s_waitcnt vmcnt(0)
	global_load_dwordx2 v[2:3], v[0:1], off offset:16
	s_waitcnt vmcnt(0)
	v_cmp_eq_u64_e32 vcc, 0, v[2:3]
	s_cbranch_vccnz .LBB8_132
; %bb.131:
	global_load_dword v0, v[0:1], off offset:24
	v_mov_b32_e32 v1, 0
	s_waitcnt vmcnt(0)
	v_readfirstlane_b32 s8, v0
	s_and_b32 m0, s8, 0xffffff
	global_store_dwordx2 v[2:3], v[0:1], off
	s_sendmsg sendmsg(MSG_INTERRUPT)
.LBB8_132:
	s_or_b64 exec, exec, s[6:7]
	s_branch .LBB8_136
.LBB8_133:                              ;   in Loop: Header=BB8_136 Depth=1
	s_or_b64 exec, exec, s[6:7]
	v_readfirstlane_b32 s6, v0
	s_cmp_eq_u32 s6, 0
	s_cbranch_scc1 .LBB8_135
; %bb.134:                              ;   in Loop: Header=BB8_136 Depth=1
	s_sleep 1
	s_cbranch_execnz .LBB8_136
	s_branch .LBB8_138
.LBB8_135:
	s_branch .LBB8_138
.LBB8_136:                              ; =>This Inner Loop Header: Depth=1
	v_mov_b32_e32 v0, 1
	s_and_saveexec_b64 s[6:7], s[0:1]
	s_cbranch_execz .LBB8_133
; %bb.137:                              ;   in Loop: Header=BB8_136 Depth=1
	global_load_dword v0, v[8:9], off offset:20 glc
	s_waitcnt vmcnt(0)
	buffer_wbinvl1_vol
	v_and_b32_e32 v0, 1, v0
	s_branch .LBB8_133
.LBB8_138:
	s_and_saveexec_b64 s[6:7], s[0:1]
	s_cbranch_execz .LBB8_141
; %bb.139:
	v_mov_b32_e32 v6, 0
	global_load_dwordx2 v[0:1], v6, s[2:3] offset:40
	global_load_dwordx2 v[9:10], v6, s[2:3] offset:24 glc
	global_load_dwordx2 v[2:3], v6, s[2:3]
	s_waitcnt vmcnt(2)
	v_readfirstlane_b32 s6, v0
	v_readfirstlane_b32 s7, v1
	s_add_u32 s8, s6, 1
	s_addc_u32 s9, s7, 0
	s_add_u32 s0, s8, s4
	s_addc_u32 s1, s9, s5
	s_cmp_eq_u64 s[0:1], 0
	s_cselect_b32 s1, s9, s1
	s_cselect_b32 s0, s8, s0
	s_and_b64 s[4:5], s[0:1], s[6:7]
	s_mul_i32 s5, s5, 24
	s_mul_hi_u32 s6, s4, 24
	s_mul_i32 s4, s4, 24
	s_add_i32 s5, s6, s5
	v_mov_b32_e32 v0, s5
	s_waitcnt vmcnt(0)
	v_add_co_u32_e32 v4, vcc, s4, v2
	v_addc_co_u32_e32 v5, vcc, v3, v0, vcc
	v_mov_b32_e32 v7, s0
	global_store_dwordx2 v[4:5], v[9:10], off
	v_mov_b32_e32 v8, s1
	s_waitcnt vmcnt(0)
	global_atomic_cmpswap_x2 v[2:3], v6, v[7:10], s[2:3] offset:24 glc
	s_mov_b64 s[4:5], 0
	s_waitcnt vmcnt(0)
	v_cmp_ne_u64_e32 vcc, v[2:3], v[9:10]
	s_and_b64 exec, exec, vcc
	s_cbranch_execz .LBB8_141
.LBB8_140:                              ; =>This Inner Loop Header: Depth=1
	s_sleep 1
	global_store_dwordx2 v[4:5], v[2:3], off
	v_mov_b32_e32 v0, s0
	v_mov_b32_e32 v1, s1
	s_waitcnt vmcnt(0)
	global_atomic_cmpswap_x2 v[0:1], v6, v[0:3], s[2:3] offset:24 glc
	s_waitcnt vmcnt(0)
	v_cmp_eq_u64_e32 vcc, v[0:1], v[2:3]
	v_mov_b32_e32 v3, v1
	s_or_b64 s[4:5], vcc, s[4:5]
	v_mov_b32_e32 v2, v0
	s_andn2_b64 exec, exec, s[4:5]
	s_cbranch_execnz .LBB8_140
.LBB8_141:
	s_endpgm
	.section	.rodata,"a",@progbits
	.p2align	6, 0x0
	.amdhsa_kernel _ZN2at6native30tinygemm_m16n8k16_chunk_kernelINS0_10ALayout_RMILNS0_14KReductionTypeE0EEENS0_15BLayout_TC_int4ILi8ELi128EEES4_Li8ELi8EEEvPKvS8_S8_Pviiiiii
		.amdhsa_group_segment_fixed_size 0
		.amdhsa_private_segment_fixed_size 0
		.amdhsa_kernarg_size 312
		.amdhsa_user_sgpr_count 6
		.amdhsa_user_sgpr_private_segment_buffer 1
		.amdhsa_user_sgpr_dispatch_ptr 0
		.amdhsa_user_sgpr_queue_ptr 0
		.amdhsa_user_sgpr_kernarg_segment_ptr 1
		.amdhsa_user_sgpr_dispatch_id 0
		.amdhsa_user_sgpr_flat_scratch_init 0
		.amdhsa_user_sgpr_private_segment_size 0
		.amdhsa_uses_dynamic_stack 0
		.amdhsa_system_sgpr_private_segment_wavefront_offset 0
		.amdhsa_system_sgpr_workgroup_id_x 1
		.amdhsa_system_sgpr_workgroup_id_y 0
		.amdhsa_system_sgpr_workgroup_id_z 0
		.amdhsa_system_sgpr_workgroup_info 0
		.amdhsa_system_vgpr_workitem_id 0
		.amdhsa_next_free_vgpr 32
		.amdhsa_next_free_sgpr 19
		.amdhsa_reserve_vcc 1
		.amdhsa_reserve_flat_scratch 0
		.amdhsa_float_round_mode_32 0
		.amdhsa_float_round_mode_16_64 0
		.amdhsa_float_denorm_mode_32 3
		.amdhsa_float_denorm_mode_16_64 3
		.amdhsa_dx10_clamp 1
		.amdhsa_ieee_mode 1
		.amdhsa_fp16_overflow 0
		.amdhsa_exception_fp_ieee_invalid_op 0
		.amdhsa_exception_fp_denorm_src 0
		.amdhsa_exception_fp_ieee_div_zero 0
		.amdhsa_exception_fp_ieee_overflow 0
		.amdhsa_exception_fp_ieee_underflow 0
		.amdhsa_exception_fp_ieee_inexact 0
		.amdhsa_exception_int_div_zero 0
	.end_amdhsa_kernel
	.section	.text._ZN2at6native30tinygemm_m16n8k16_chunk_kernelINS0_10ALayout_RMILNS0_14KReductionTypeE0EEENS0_15BLayout_TC_int4ILi8ELi128EEES4_Li8ELi8EEEvPKvS8_S8_Pviiiiii,"axG",@progbits,_ZN2at6native30tinygemm_m16n8k16_chunk_kernelINS0_10ALayout_RMILNS0_14KReductionTypeE0EEENS0_15BLayout_TC_int4ILi8ELi128EEES4_Li8ELi8EEEvPKvS8_S8_Pviiiiii,comdat
.Lfunc_end8:
	.size	_ZN2at6native30tinygemm_m16n8k16_chunk_kernelINS0_10ALayout_RMILNS0_14KReductionTypeE0EEENS0_15BLayout_TC_int4ILi8ELi128EEES4_Li8ELi8EEEvPKvS8_S8_Pviiiiii, .Lfunc_end8-_ZN2at6native30tinygemm_m16n8k16_chunk_kernelINS0_10ALayout_RMILNS0_14KReductionTypeE0EEENS0_15BLayout_TC_int4ILi8ELi128EEES4_Li8ELi8EEEvPKvS8_S8_Pviiiiii
                                        ; -- End function
	.set _ZN2at6native30tinygemm_m16n8k16_chunk_kernelINS0_10ALayout_RMILNS0_14KReductionTypeE0EEENS0_15BLayout_TC_int4ILi8ELi128EEES4_Li8ELi8EEEvPKvS8_S8_Pviiiiii.num_vgpr, 32
	.set _ZN2at6native30tinygemm_m16n8k16_chunk_kernelINS0_10ALayout_RMILNS0_14KReductionTypeE0EEENS0_15BLayout_TC_int4ILi8ELi128EEES4_Li8ELi8EEEvPKvS8_S8_Pviiiiii.num_agpr, 0
	.set _ZN2at6native30tinygemm_m16n8k16_chunk_kernelINS0_10ALayout_RMILNS0_14KReductionTypeE0EEENS0_15BLayout_TC_int4ILi8ELi128EEES4_Li8ELi8EEEvPKvS8_S8_Pviiiiii.numbered_sgpr, 19
	.set _ZN2at6native30tinygemm_m16n8k16_chunk_kernelINS0_10ALayout_RMILNS0_14KReductionTypeE0EEENS0_15BLayout_TC_int4ILi8ELi128EEES4_Li8ELi8EEEvPKvS8_S8_Pviiiiii.num_named_barrier, 0
	.set _ZN2at6native30tinygemm_m16n8k16_chunk_kernelINS0_10ALayout_RMILNS0_14KReductionTypeE0EEENS0_15BLayout_TC_int4ILi8ELi128EEES4_Li8ELi8EEEvPKvS8_S8_Pviiiiii.private_seg_size, 0
	.set _ZN2at6native30tinygemm_m16n8k16_chunk_kernelINS0_10ALayout_RMILNS0_14KReductionTypeE0EEENS0_15BLayout_TC_int4ILi8ELi128EEES4_Li8ELi8EEEvPKvS8_S8_Pviiiiii.uses_vcc, 1
	.set _ZN2at6native30tinygemm_m16n8k16_chunk_kernelINS0_10ALayout_RMILNS0_14KReductionTypeE0EEENS0_15BLayout_TC_int4ILi8ELi128EEES4_Li8ELi8EEEvPKvS8_S8_Pviiiiii.uses_flat_scratch, 0
	.set _ZN2at6native30tinygemm_m16n8k16_chunk_kernelINS0_10ALayout_RMILNS0_14KReductionTypeE0EEENS0_15BLayout_TC_int4ILi8ELi128EEES4_Li8ELi8EEEvPKvS8_S8_Pviiiiii.has_dyn_sized_stack, 0
	.set _ZN2at6native30tinygemm_m16n8k16_chunk_kernelINS0_10ALayout_RMILNS0_14KReductionTypeE0EEENS0_15BLayout_TC_int4ILi8ELi128EEES4_Li8ELi8EEEvPKvS8_S8_Pviiiiii.has_recursion, 0
	.set _ZN2at6native30tinygemm_m16n8k16_chunk_kernelINS0_10ALayout_RMILNS0_14KReductionTypeE0EEENS0_15BLayout_TC_int4ILi8ELi128EEES4_Li8ELi8EEEvPKvS8_S8_Pviiiiii.has_indirect_call, 0
	.section	.AMDGPU.csdata,"",@progbits
; Kernel info:
; codeLenInByte = 4752
; TotalNumSgprs: 23
; NumVgprs: 32
; ScratchSize: 0
; MemoryBound: 0
; FloatMode: 240
; IeeeMode: 1
; LDSByteSize: 0 bytes/workgroup (compile time only)
; SGPRBlocks: 2
; VGPRBlocks: 7
; NumSGPRsForWavesPerEU: 23
; NumVGPRsForWavesPerEU: 32
; Occupancy: 8
; WaveLimiterHint : 1
; COMPUTE_PGM_RSRC2:SCRATCH_EN: 0
; COMPUTE_PGM_RSRC2:USER_SGPR: 6
; COMPUTE_PGM_RSRC2:TRAP_HANDLER: 0
; COMPUTE_PGM_RSRC2:TGID_X_EN: 1
; COMPUTE_PGM_RSRC2:TGID_Y_EN: 0
; COMPUTE_PGM_RSRC2:TGID_Z_EN: 0
; COMPUTE_PGM_RSRC2:TIDIG_COMP_CNT: 0
	.section	.text._ZN2at6native30tinygemm_m16n8k16_chunk_kernelINS0_10ALayout_RMILNS0_14KReductionTypeE0EEENS0_15BLayout_TC_int4ILi2ELi256EEES4_Li8ELi8EEEvPKvS8_S8_Pviiiiii,"axG",@progbits,_ZN2at6native30tinygemm_m16n8k16_chunk_kernelINS0_10ALayout_RMILNS0_14KReductionTypeE0EEENS0_15BLayout_TC_int4ILi2ELi256EEES4_Li8ELi8EEEvPKvS8_S8_Pviiiiii,comdat
	.protected	_ZN2at6native30tinygemm_m16n8k16_chunk_kernelINS0_10ALayout_RMILNS0_14KReductionTypeE0EEENS0_15BLayout_TC_int4ILi2ELi256EEES4_Li8ELi8EEEvPKvS8_S8_Pviiiiii ; -- Begin function _ZN2at6native30tinygemm_m16n8k16_chunk_kernelINS0_10ALayout_RMILNS0_14KReductionTypeE0EEENS0_15BLayout_TC_int4ILi2ELi256EEES4_Li8ELi8EEEvPKvS8_S8_Pviiiiii
	.globl	_ZN2at6native30tinygemm_m16n8k16_chunk_kernelINS0_10ALayout_RMILNS0_14KReductionTypeE0EEENS0_15BLayout_TC_int4ILi2ELi256EEES4_Li8ELi8EEEvPKvS8_S8_Pviiiiii
	.p2align	8
	.type	_ZN2at6native30tinygemm_m16n8k16_chunk_kernelINS0_10ALayout_RMILNS0_14KReductionTypeE0EEENS0_15BLayout_TC_int4ILi2ELi256EEES4_Li8ELi8EEEvPKvS8_S8_Pviiiiii,@function
_ZN2at6native30tinygemm_m16n8k16_chunk_kernelINS0_10ALayout_RMILNS0_14KReductionTypeE0EEENS0_15BLayout_TC_int4ILi2ELi256EEES4_Li8ELi8EEEvPKvS8_S8_Pviiiiii: ; @_ZN2at6native30tinygemm_m16n8k16_chunk_kernelINS0_10ALayout_RMILNS0_14KReductionTypeE0EEENS0_15BLayout_TC_int4ILi2ELi256EEES4_Li8ELi8EEEvPKvS8_S8_Pviiiiii
; %bb.0:
	s_load_dwordx2 s[2:3], s[4:5], 0x88
	v_mbcnt_lo_u32_b32 v0, -1, 0
	v_mbcnt_hi_u32_b32 v30, -1, v0
	v_readfirstlane_b32 s0, v30
	v_mov_b32_e32 v5, 0
	v_mov_b32_e32 v6, 0
	v_cmp_eq_u32_e64 s[0:1], s0, v30
	s_and_saveexec_b64 s[4:5], s[0:1]
	s_cbranch_execz .LBB9_6
; %bb.1:
	v_mov_b32_e32 v0, 0
	s_waitcnt lgkmcnt(0)
	global_load_dwordx2 v[3:4], v0, s[2:3] offset:24 glc
	s_waitcnt vmcnt(0)
	buffer_wbinvl1_vol
	global_load_dwordx2 v[1:2], v0, s[2:3] offset:40
	global_load_dwordx2 v[5:6], v0, s[2:3]
	s_waitcnt vmcnt(1)
	v_and_b32_e32 v1, v1, v3
	v_and_b32_e32 v2, v2, v4
	v_mul_lo_u32 v2, v2, 24
	v_mul_hi_u32 v7, v1, 24
	v_mul_lo_u32 v1, v1, 24
	v_add_u32_e32 v2, v7, v2
	s_waitcnt vmcnt(0)
	v_add_co_u32_e32 v1, vcc, v5, v1
	v_addc_co_u32_e32 v2, vcc, v6, v2, vcc
	global_load_dwordx2 v[1:2], v[1:2], off glc
	s_waitcnt vmcnt(0)
	global_atomic_cmpswap_x2 v[5:6], v0, v[1:4], s[2:3] offset:24 glc
	s_waitcnt vmcnt(0)
	buffer_wbinvl1_vol
	v_cmp_ne_u64_e32 vcc, v[5:6], v[3:4]
	s_and_saveexec_b64 s[6:7], vcc
	s_cbranch_execz .LBB9_5
; %bb.2:
	s_mov_b64 s[8:9], 0
.LBB9_3:                                ; =>This Inner Loop Header: Depth=1
	s_sleep 1
	global_load_dwordx2 v[1:2], v0, s[2:3] offset:40
	global_load_dwordx2 v[7:8], v0, s[2:3]
	v_mov_b32_e32 v3, v5
	v_mov_b32_e32 v4, v6
	s_waitcnt vmcnt(1)
	v_and_b32_e32 v1, v1, v3
	s_waitcnt vmcnt(0)
	v_mad_u64_u32 v[5:6], s[10:11], v1, 24, v[7:8]
	v_and_b32_e32 v2, v2, v4
	v_mov_b32_e32 v1, v6
	v_mad_u64_u32 v[1:2], s[10:11], v2, 24, v[1:2]
	v_mov_b32_e32 v6, v1
	global_load_dwordx2 v[1:2], v[5:6], off glc
	s_waitcnt vmcnt(0)
	global_atomic_cmpswap_x2 v[5:6], v0, v[1:4], s[2:3] offset:24 glc
	s_waitcnt vmcnt(0)
	buffer_wbinvl1_vol
	v_cmp_eq_u64_e32 vcc, v[5:6], v[3:4]
	s_or_b64 s[8:9], vcc, s[8:9]
	s_andn2_b64 exec, exec, s[8:9]
	s_cbranch_execnz .LBB9_3
; %bb.4:
	s_or_b64 exec, exec, s[8:9]
.LBB9_5:
	s_or_b64 exec, exec, s[6:7]
.LBB9_6:
	s_or_b64 exec, exec, s[4:5]
	v_mov_b32_e32 v4, 0
	s_waitcnt lgkmcnt(0)
	global_load_dwordx2 v[7:8], v4, s[2:3] offset:40
	global_load_dwordx4 v[0:3], v4, s[2:3]
	v_readfirstlane_b32 s5, v6
	v_readfirstlane_b32 s4, v5
	s_mov_b64 s[6:7], exec
	s_waitcnt vmcnt(1)
	v_readfirstlane_b32 s8, v7
	v_readfirstlane_b32 s9, v8
	s_and_b64 s[8:9], s[8:9], s[4:5]
	s_mul_i32 s10, s9, 24
	s_mul_hi_u32 s11, s8, 24
	s_mul_i32 s12, s8, 24
	s_add_i32 s10, s11, s10
	v_mov_b32_e32 v5, s10
	s_waitcnt vmcnt(0)
	v_add_co_u32_e32 v7, vcc, s12, v0
	v_addc_co_u32_e32 v8, vcc, v1, v5, vcc
	s_and_saveexec_b64 s[10:11], s[0:1]
	s_cbranch_execz .LBB9_8
; %bb.7:
	v_mov_b32_e32 v10, s7
	v_mov_b32_e32 v9, s6
	;; [unrolled: 1-line block ×4, first 2 shown]
	global_store_dwordx4 v[7:8], v[9:12], off offset:8
.LBB9_8:
	s_or_b64 exec, exec, s[10:11]
	s_lshl_b64 s[6:7], s[8:9], 12
	v_mov_b32_e32 v5, s7
	v_add_co_u32_e32 v2, vcc, s6, v2
	v_addc_co_u32_e32 v11, vcc, v3, v5, vcc
	v_lshlrev_b32_e32 v29, 6, v30
	s_mov_b32 s8, 0
	v_mov_b32_e32 v3, 33
	v_mov_b32_e32 v5, v4
	;; [unrolled: 1-line block ×3, first 2 shown]
	v_readfirstlane_b32 s6, v2
	v_readfirstlane_b32 s7, v11
	v_add_co_u32_e32 v9, vcc, v2, v29
	s_mov_b32 s9, s8
	s_mov_b32 s10, s8
	;; [unrolled: 1-line block ×3, first 2 shown]
	s_nop 0
	global_store_dwordx4 v29, v[3:6], s[6:7]
	v_mov_b32_e32 v2, s8
	v_addc_co_u32_e32 v10, vcc, 0, v11, vcc
	v_mov_b32_e32 v3, s9
	v_mov_b32_e32 v4, s10
	;; [unrolled: 1-line block ×3, first 2 shown]
	global_store_dwordx4 v29, v[2:5], s[6:7] offset:16
	global_store_dwordx4 v29, v[2:5], s[6:7] offset:32
	;; [unrolled: 1-line block ×3, first 2 shown]
	s_and_saveexec_b64 s[6:7], s[0:1]
	s_cbranch_execz .LBB9_16
; %bb.9:
	v_mov_b32_e32 v6, 0
	global_load_dwordx2 v[13:14], v6, s[2:3] offset:32 glc
	global_load_dwordx2 v[2:3], v6, s[2:3] offset:40
	v_mov_b32_e32 v11, s4
	v_mov_b32_e32 v12, s5
	s_waitcnt vmcnt(0)
	v_and_b32_e32 v2, s4, v2
	v_and_b32_e32 v3, s5, v3
	v_mul_lo_u32 v3, v3, 24
	v_mul_hi_u32 v4, v2, 24
	v_mul_lo_u32 v2, v2, 24
	v_add_u32_e32 v3, v4, v3
	v_add_co_u32_e32 v4, vcc, v0, v2
	v_addc_co_u32_e32 v5, vcc, v1, v3, vcc
	global_store_dwordx2 v[4:5], v[13:14], off
	s_waitcnt vmcnt(0)
	global_atomic_cmpswap_x2 v[2:3], v6, v[11:14], s[2:3] offset:32 glc
	s_waitcnt vmcnt(0)
	v_cmp_ne_u64_e32 vcc, v[2:3], v[13:14]
	s_and_saveexec_b64 s[8:9], vcc
	s_cbranch_execz .LBB9_12
; %bb.10:
	s_mov_b64 s[10:11], 0
.LBB9_11:                               ; =>This Inner Loop Header: Depth=1
	s_sleep 1
	global_store_dwordx2 v[4:5], v[2:3], off
	v_mov_b32_e32 v0, s4
	v_mov_b32_e32 v1, s5
	s_waitcnt vmcnt(0)
	global_atomic_cmpswap_x2 v[0:1], v6, v[0:3], s[2:3] offset:32 glc
	s_waitcnt vmcnt(0)
	v_cmp_eq_u64_e32 vcc, v[0:1], v[2:3]
	v_mov_b32_e32 v3, v1
	s_or_b64 s[10:11], vcc, s[10:11]
	v_mov_b32_e32 v2, v0
	s_andn2_b64 exec, exec, s[10:11]
	s_cbranch_execnz .LBB9_11
.LBB9_12:
	s_or_b64 exec, exec, s[8:9]
	v_mov_b32_e32 v3, 0
	global_load_dwordx2 v[0:1], v3, s[2:3] offset:16
	s_mov_b64 s[8:9], exec
	v_mbcnt_lo_u32_b32 v2, s8, 0
	v_mbcnt_hi_u32_b32 v2, s9, v2
	v_cmp_eq_u32_e32 vcc, 0, v2
	s_and_saveexec_b64 s[10:11], vcc
	s_cbranch_execz .LBB9_14
; %bb.13:
	s_bcnt1_i32_b64 s8, s[8:9]
	v_mov_b32_e32 v2, s8
	s_waitcnt vmcnt(0)
	global_atomic_add_x2 v[0:1], v[2:3], off offset:8
.LBB9_14:
	s_or_b64 exec, exec, s[10:11]
	s_waitcnt vmcnt(0)
	global_load_dwordx2 v[2:3], v[0:1], off offset:16
	s_waitcnt vmcnt(0)
	v_cmp_eq_u64_e32 vcc, 0, v[2:3]
	s_cbranch_vccnz .LBB9_16
; %bb.15:
	global_load_dword v0, v[0:1], off offset:24
	v_mov_b32_e32 v1, 0
	s_waitcnt vmcnt(0)
	v_readfirstlane_b32 s8, v0
	s_and_b32 m0, s8, 0xffffff
	global_store_dwordx2 v[2:3], v[0:1], off
	s_sendmsg sendmsg(MSG_INTERRUPT)
.LBB9_16:
	s_or_b64 exec, exec, s[6:7]
	s_branch .LBB9_20
.LBB9_17:                               ;   in Loop: Header=BB9_20 Depth=1
	s_or_b64 exec, exec, s[6:7]
	v_readfirstlane_b32 s6, v0
	s_cmp_eq_u32 s6, 0
	s_cbranch_scc1 .LBB9_19
; %bb.18:                               ;   in Loop: Header=BB9_20 Depth=1
	s_sleep 1
	s_cbranch_execnz .LBB9_20
	s_branch .LBB9_22
.LBB9_19:
	s_branch .LBB9_22
.LBB9_20:                               ; =>This Inner Loop Header: Depth=1
	v_mov_b32_e32 v0, 1
	s_and_saveexec_b64 s[6:7], s[0:1]
	s_cbranch_execz .LBB9_17
; %bb.21:                               ;   in Loop: Header=BB9_20 Depth=1
	global_load_dword v0, v[7:8], off offset:20 glc
	s_waitcnt vmcnt(0)
	buffer_wbinvl1_vol
	v_and_b32_e32 v0, 1, v0
	s_branch .LBB9_17
.LBB9_22:
	global_load_dwordx2 v[0:1], v[9:10], off
	s_and_saveexec_b64 s[6:7], s[0:1]
	s_cbranch_execz .LBB9_25
; %bb.23:
	v_mov_b32_e32 v8, 0
	global_load_dwordx2 v[2:3], v8, s[2:3] offset:40
	global_load_dwordx2 v[11:12], v8, s[2:3] offset:24 glc
	global_load_dwordx2 v[4:5], v8, s[2:3]
	s_waitcnt vmcnt(2)
	v_readfirstlane_b32 s8, v2
	v_readfirstlane_b32 s9, v3
	s_add_u32 s10, s8, 1
	s_addc_u32 s11, s9, 0
	s_add_u32 s0, s10, s4
	s_addc_u32 s1, s11, s5
	s_cmp_eq_u64 s[0:1], 0
	s_cselect_b32 s1, s11, s1
	s_cselect_b32 s0, s10, s0
	s_and_b64 s[4:5], s[0:1], s[8:9]
	s_mul_i32 s5, s5, 24
	s_mul_hi_u32 s8, s4, 24
	s_mul_i32 s4, s4, 24
	s_add_i32 s5, s8, s5
	v_mov_b32_e32 v2, s5
	s_waitcnt vmcnt(0)
	v_add_co_u32_e32 v6, vcc, s4, v4
	v_addc_co_u32_e32 v7, vcc, v5, v2, vcc
	v_mov_b32_e32 v9, s0
	global_store_dwordx2 v[6:7], v[11:12], off
	v_mov_b32_e32 v10, s1
	s_waitcnt vmcnt(0)
	global_atomic_cmpswap_x2 v[4:5], v8, v[9:12], s[2:3] offset:24 glc
	s_mov_b64 s[4:5], 0
	s_waitcnt vmcnt(0)
	v_cmp_ne_u64_e32 vcc, v[4:5], v[11:12]
	s_and_b64 exec, exec, vcc
	s_cbranch_execz .LBB9_25
.LBB9_24:                               ; =>This Inner Loop Header: Depth=1
	s_sleep 1
	global_store_dwordx2 v[6:7], v[4:5], off
	v_mov_b32_e32 v2, s0
	v_mov_b32_e32 v3, s1
	s_waitcnt vmcnt(0)
	global_atomic_cmpswap_x2 v[2:3], v8, v[2:5], s[2:3] offset:24 glc
	s_waitcnt vmcnt(0)
	v_cmp_eq_u64_e32 vcc, v[2:3], v[4:5]
	v_mov_b32_e32 v5, v3
	s_or_b64 s[4:5], vcc, s[4:5]
	v_mov_b32_e32 v4, v2
	s_andn2_b64 exec, exec, s[4:5]
	s_cbranch_execnz .LBB9_24
.LBB9_25:
	s_or_b64 exec, exec, s[6:7]
	s_getpc_b64 s[4:5]
	s_add_u32 s4, s4, .str@rel32@lo+4
	s_addc_u32 s5, s5, .str@rel32@hi+12
	s_cmp_lg_u64 s[4:5], 0
	s_cselect_b64 s[0:1], -1, 0
	s_cmp_eq_u64 s[4:5], 0
	s_mov_b64 s[4:5], 0
	s_cbranch_scc1 .LBB9_29
; %bb.26:
	v_mov_b32_e32 v2, 0
	s_getpc_b64 s[4:5]
	s_add_u32 s4, s4, .str@rel32@lo+3
	s_addc_u32 s5, s5, .str@rel32@hi+11
.LBB9_27:                               ; =>This Inner Loop Header: Depth=1
	global_load_ubyte v3, v2, s[4:5] offset:1
	s_add_u32 s6, s4, 1
	s_addc_u32 s7, s5, 0
	s_mov_b64 s[4:5], s[6:7]
	s_waitcnt vmcnt(0)
	v_cmp_ne_u32_e32 vcc, 0, v3
	s_cbranch_vccnz .LBB9_27
; %bb.28:
	s_getpc_b64 s[4:5]
	s_add_u32 s4, s4, .str@rel32@lo+4
	s_addc_u32 s5, s5, .str@rel32@hi+12
	s_sub_u32 s4, s6, s4
	s_subb_u32 s5, s7, s5
	s_add_u32 s4, s4, 1
	s_addc_u32 s5, s5, 0
.LBB9_29:
	s_and_b64 vcc, exec, s[0:1]
	s_cbranch_vccz .LBB9_115
; %bb.30:
	s_waitcnt vmcnt(0)
	v_and_b32_e32 v6, -3, v0
	v_mov_b32_e32 v7, v1
	v_mov_b32_e32 v26, 0
	;; [unrolled: 1-line block ×4, first 2 shown]
	s_getpc_b64 s[6:7]
	s_add_u32 s6, s6, .str@rel32@lo+4
	s_addc_u32 s7, s7, .str@rel32@hi+12
	s_branch .LBB9_32
.LBB9_31:                               ;   in Loop: Header=BB9_32 Depth=1
	s_or_b64 exec, exec, s[12:13]
	s_sub_u32 s4, s4, s8
	s_subb_u32 s5, s5, s9
	s_add_u32 s6, s6, s8
	s_addc_u32 s7, s7, s9
	s_cmp_lg_u64 s[4:5], 0
	s_cbranch_scc0 .LBB9_114
.LBB9_32:                               ; =>This Loop Header: Depth=1
                                        ;     Child Loop BB9_35 Depth 2
                                        ;     Child Loop BB9_43 Depth 2
	;; [unrolled: 1-line block ×11, first 2 shown]
	v_cmp_lt_u64_e64 s[0:1], s[4:5], 56
	v_cmp_gt_u64_e64 s[10:11], s[4:5], 7
	s_and_b64 s[0:1], s[0:1], exec
	s_cselect_b32 s9, s5, 0
	s_cselect_b32 s8, s4, 56
	s_add_u32 s0, s6, 8
	s_addc_u32 s1, s7, 0
	s_and_b64 vcc, exec, s[10:11]
	s_cbranch_vccnz .LBB9_36
; %bb.33:                               ;   in Loop: Header=BB9_32 Depth=1
	s_cmp_eq_u64 s[4:5], 0
	s_cbranch_scc1 .LBB9_37
; %bb.34:                               ;   in Loop: Header=BB9_32 Depth=1
	s_waitcnt vmcnt(0)
	v_mov_b32_e32 v8, 0
	s_lshl_b64 s[0:1], s[8:9], 3
	s_mov_b64 s[10:11], 0
	v_mov_b32_e32 v9, 0
	s_mov_b64 s[12:13], s[6:7]
.LBB9_35:                               ;   Parent Loop BB9_32 Depth=1
                                        ; =>  This Inner Loop Header: Depth=2
	global_load_ubyte v2, v26, s[12:13]
	s_waitcnt vmcnt(0)
	v_and_b32_e32 v25, 0xffff, v2
	v_lshlrev_b64 v[2:3], s10, v[25:26]
	s_add_u32 s10, s10, 8
	s_addc_u32 s11, s11, 0
	s_add_u32 s12, s12, 1
	s_addc_u32 s13, s13, 0
	v_or_b32_e32 v8, v2, v8
	s_cmp_lg_u32 s0, s10
	v_or_b32_e32 v9, v3, v9
	s_cbranch_scc1 .LBB9_35
	s_branch .LBB9_38
.LBB9_36:                               ;   in Loop: Header=BB9_32 Depth=1
	s_mov_b32 s14, 0
	s_branch .LBB9_39
.LBB9_37:                               ;   in Loop: Header=BB9_32 Depth=1
	s_waitcnt vmcnt(0)
	v_mov_b32_e32 v8, 0
	v_mov_b32_e32 v9, 0
.LBB9_38:                               ;   in Loop: Header=BB9_32 Depth=1
	s_mov_b64 s[0:1], s[6:7]
	s_mov_b32 s14, 0
	s_cbranch_execnz .LBB9_40
.LBB9_39:                               ;   in Loop: Header=BB9_32 Depth=1
	global_load_dwordx2 v[8:9], v26, s[6:7]
	s_add_i32 s14, s8, -8
.LBB9_40:                               ;   in Loop: Header=BB9_32 Depth=1
	s_add_u32 s10, s0, 8
	s_addc_u32 s11, s1, 0
	s_cmp_gt_u32 s14, 7
	s_cbranch_scc1 .LBB9_44
; %bb.41:                               ;   in Loop: Header=BB9_32 Depth=1
	s_cmp_eq_u32 s14, 0
	s_cbranch_scc1 .LBB9_45
; %bb.42:                               ;   in Loop: Header=BB9_32 Depth=1
	v_mov_b32_e32 v10, 0
	s_mov_b64 s[10:11], 0
	v_mov_b32_e32 v11, 0
	s_mov_b64 s[12:13], 0
.LBB9_43:                               ;   Parent Loop BB9_32 Depth=1
                                        ; =>  This Inner Loop Header: Depth=2
	s_add_u32 s16, s0, s12
	s_addc_u32 s17, s1, s13
	global_load_ubyte v2, v26, s[16:17]
	s_add_u32 s12, s12, 1
	s_addc_u32 s13, s13, 0
	s_waitcnt vmcnt(0)
	v_and_b32_e32 v25, 0xffff, v2
	v_lshlrev_b64 v[2:3], s10, v[25:26]
	s_add_u32 s10, s10, 8
	s_addc_u32 s11, s11, 0
	v_or_b32_e32 v10, v2, v10
	s_cmp_lg_u32 s14, s12
	v_or_b32_e32 v11, v3, v11
	s_cbranch_scc1 .LBB9_43
	s_branch .LBB9_46
.LBB9_44:                               ;   in Loop: Header=BB9_32 Depth=1
                                        ; implicit-def: $vgpr10_vgpr11
	s_mov_b32 s15, 0
	s_branch .LBB9_47
.LBB9_45:                               ;   in Loop: Header=BB9_32 Depth=1
	v_mov_b32_e32 v10, 0
	v_mov_b32_e32 v11, 0
.LBB9_46:                               ;   in Loop: Header=BB9_32 Depth=1
	s_mov_b64 s[10:11], s[0:1]
	s_mov_b32 s15, 0
	s_cbranch_execnz .LBB9_48
.LBB9_47:                               ;   in Loop: Header=BB9_32 Depth=1
	global_load_dwordx2 v[10:11], v26, s[0:1]
	s_add_i32 s15, s14, -8
.LBB9_48:                               ;   in Loop: Header=BB9_32 Depth=1
	s_add_u32 s0, s10, 8
	s_addc_u32 s1, s11, 0
	s_cmp_gt_u32 s15, 7
	s_cbranch_scc1 .LBB9_52
; %bb.49:                               ;   in Loop: Header=BB9_32 Depth=1
	s_cmp_eq_u32 s15, 0
	s_cbranch_scc1 .LBB9_53
; %bb.50:                               ;   in Loop: Header=BB9_32 Depth=1
	v_mov_b32_e32 v12, 0
	s_mov_b64 s[0:1], 0
	v_mov_b32_e32 v13, 0
	s_mov_b64 s[12:13], 0
.LBB9_51:                               ;   Parent Loop BB9_32 Depth=1
                                        ; =>  This Inner Loop Header: Depth=2
	s_add_u32 s16, s10, s12
	s_addc_u32 s17, s11, s13
	global_load_ubyte v2, v26, s[16:17]
	s_add_u32 s12, s12, 1
	s_addc_u32 s13, s13, 0
	s_waitcnt vmcnt(0)
	v_and_b32_e32 v25, 0xffff, v2
	v_lshlrev_b64 v[2:3], s0, v[25:26]
	s_add_u32 s0, s0, 8
	s_addc_u32 s1, s1, 0
	v_or_b32_e32 v12, v2, v12
	s_cmp_lg_u32 s15, s12
	v_or_b32_e32 v13, v3, v13
	s_cbranch_scc1 .LBB9_51
	s_branch .LBB9_54
.LBB9_52:                               ;   in Loop: Header=BB9_32 Depth=1
	s_mov_b32 s14, 0
	s_branch .LBB9_55
.LBB9_53:                               ;   in Loop: Header=BB9_32 Depth=1
	v_mov_b32_e32 v12, 0
	v_mov_b32_e32 v13, 0
.LBB9_54:                               ;   in Loop: Header=BB9_32 Depth=1
	s_mov_b64 s[0:1], s[10:11]
	s_mov_b32 s14, 0
	s_cbranch_execnz .LBB9_56
.LBB9_55:                               ;   in Loop: Header=BB9_32 Depth=1
	global_load_dwordx2 v[12:13], v26, s[10:11]
	s_add_i32 s14, s15, -8
.LBB9_56:                               ;   in Loop: Header=BB9_32 Depth=1
	s_add_u32 s10, s0, 8
	s_addc_u32 s11, s1, 0
	s_cmp_gt_u32 s14, 7
	s_cbranch_scc1 .LBB9_60
; %bb.57:                               ;   in Loop: Header=BB9_32 Depth=1
	s_cmp_eq_u32 s14, 0
	s_cbranch_scc1 .LBB9_61
; %bb.58:                               ;   in Loop: Header=BB9_32 Depth=1
	v_mov_b32_e32 v14, 0
	s_mov_b64 s[10:11], 0
	v_mov_b32_e32 v15, 0
	s_mov_b64 s[12:13], 0
.LBB9_59:                               ;   Parent Loop BB9_32 Depth=1
                                        ; =>  This Inner Loop Header: Depth=2
	s_add_u32 s16, s0, s12
	s_addc_u32 s17, s1, s13
	global_load_ubyte v2, v26, s[16:17]
	s_add_u32 s12, s12, 1
	s_addc_u32 s13, s13, 0
	s_waitcnt vmcnt(0)
	v_and_b32_e32 v25, 0xffff, v2
	v_lshlrev_b64 v[2:3], s10, v[25:26]
	s_add_u32 s10, s10, 8
	s_addc_u32 s11, s11, 0
	v_or_b32_e32 v14, v2, v14
	s_cmp_lg_u32 s14, s12
	v_or_b32_e32 v15, v3, v15
	s_cbranch_scc1 .LBB9_59
	s_branch .LBB9_62
.LBB9_60:                               ;   in Loop: Header=BB9_32 Depth=1
                                        ; implicit-def: $vgpr14_vgpr15
	s_mov_b32 s15, 0
	s_branch .LBB9_63
.LBB9_61:                               ;   in Loop: Header=BB9_32 Depth=1
	v_mov_b32_e32 v14, 0
	v_mov_b32_e32 v15, 0
.LBB9_62:                               ;   in Loop: Header=BB9_32 Depth=1
	s_mov_b64 s[10:11], s[0:1]
	s_mov_b32 s15, 0
	s_cbranch_execnz .LBB9_64
.LBB9_63:                               ;   in Loop: Header=BB9_32 Depth=1
	global_load_dwordx2 v[14:15], v26, s[0:1]
	s_add_i32 s15, s14, -8
.LBB9_64:                               ;   in Loop: Header=BB9_32 Depth=1
	s_add_u32 s0, s10, 8
	s_addc_u32 s1, s11, 0
	s_cmp_gt_u32 s15, 7
	s_cbranch_scc1 .LBB9_68
; %bb.65:                               ;   in Loop: Header=BB9_32 Depth=1
	s_cmp_eq_u32 s15, 0
	s_cbranch_scc1 .LBB9_69
; %bb.66:                               ;   in Loop: Header=BB9_32 Depth=1
	v_mov_b32_e32 v16, 0
	s_mov_b64 s[0:1], 0
	v_mov_b32_e32 v17, 0
	s_mov_b64 s[12:13], 0
.LBB9_67:                               ;   Parent Loop BB9_32 Depth=1
                                        ; =>  This Inner Loop Header: Depth=2
	s_add_u32 s16, s10, s12
	s_addc_u32 s17, s11, s13
	global_load_ubyte v2, v26, s[16:17]
	s_add_u32 s12, s12, 1
	s_addc_u32 s13, s13, 0
	s_waitcnt vmcnt(0)
	v_and_b32_e32 v25, 0xffff, v2
	v_lshlrev_b64 v[2:3], s0, v[25:26]
	s_add_u32 s0, s0, 8
	s_addc_u32 s1, s1, 0
	v_or_b32_e32 v16, v2, v16
	s_cmp_lg_u32 s15, s12
	v_or_b32_e32 v17, v3, v17
	s_cbranch_scc1 .LBB9_67
	s_branch .LBB9_70
.LBB9_68:                               ;   in Loop: Header=BB9_32 Depth=1
	s_mov_b32 s14, 0
	s_branch .LBB9_71
.LBB9_69:                               ;   in Loop: Header=BB9_32 Depth=1
	v_mov_b32_e32 v16, 0
	v_mov_b32_e32 v17, 0
.LBB9_70:                               ;   in Loop: Header=BB9_32 Depth=1
	s_mov_b64 s[0:1], s[10:11]
	s_mov_b32 s14, 0
	s_cbranch_execnz .LBB9_72
.LBB9_71:                               ;   in Loop: Header=BB9_32 Depth=1
	global_load_dwordx2 v[16:17], v26, s[10:11]
	s_add_i32 s14, s15, -8
.LBB9_72:                               ;   in Loop: Header=BB9_32 Depth=1
	s_add_u32 s10, s0, 8
	s_addc_u32 s11, s1, 0
	s_cmp_gt_u32 s14, 7
	s_cbranch_scc1 .LBB9_76
; %bb.73:                               ;   in Loop: Header=BB9_32 Depth=1
	s_cmp_eq_u32 s14, 0
	s_cbranch_scc1 .LBB9_77
; %bb.74:                               ;   in Loop: Header=BB9_32 Depth=1
	v_mov_b32_e32 v18, 0
	s_mov_b64 s[10:11], 0
	v_mov_b32_e32 v19, 0
	s_mov_b64 s[12:13], 0
.LBB9_75:                               ;   Parent Loop BB9_32 Depth=1
                                        ; =>  This Inner Loop Header: Depth=2
	s_add_u32 s16, s0, s12
	s_addc_u32 s17, s1, s13
	global_load_ubyte v2, v26, s[16:17]
	s_add_u32 s12, s12, 1
	s_addc_u32 s13, s13, 0
	s_waitcnt vmcnt(0)
	v_and_b32_e32 v25, 0xffff, v2
	v_lshlrev_b64 v[2:3], s10, v[25:26]
	s_add_u32 s10, s10, 8
	s_addc_u32 s11, s11, 0
	v_or_b32_e32 v18, v2, v18
	s_cmp_lg_u32 s14, s12
	v_or_b32_e32 v19, v3, v19
	s_cbranch_scc1 .LBB9_75
	s_branch .LBB9_78
.LBB9_76:                               ;   in Loop: Header=BB9_32 Depth=1
                                        ; implicit-def: $vgpr18_vgpr19
	s_mov_b32 s15, 0
	s_branch .LBB9_79
.LBB9_77:                               ;   in Loop: Header=BB9_32 Depth=1
	v_mov_b32_e32 v18, 0
	v_mov_b32_e32 v19, 0
.LBB9_78:                               ;   in Loop: Header=BB9_32 Depth=1
	s_mov_b64 s[10:11], s[0:1]
	s_mov_b32 s15, 0
	s_cbranch_execnz .LBB9_80
.LBB9_79:                               ;   in Loop: Header=BB9_32 Depth=1
	global_load_dwordx2 v[18:19], v26, s[0:1]
	s_add_i32 s15, s14, -8
.LBB9_80:                               ;   in Loop: Header=BB9_32 Depth=1
	s_cmp_gt_u32 s15, 7
	s_cbranch_scc1 .LBB9_84
; %bb.81:                               ;   in Loop: Header=BB9_32 Depth=1
	s_cmp_eq_u32 s15, 0
	s_cbranch_scc1 .LBB9_85
; %bb.82:                               ;   in Loop: Header=BB9_32 Depth=1
	v_mov_b32_e32 v20, 0
	s_mov_b64 s[0:1], 0
	v_mov_b32_e32 v21, 0
	s_mov_b64 s[12:13], s[10:11]
.LBB9_83:                               ;   Parent Loop BB9_32 Depth=1
                                        ; =>  This Inner Loop Header: Depth=2
	global_load_ubyte v2, v26, s[12:13]
	s_add_i32 s15, s15, -1
	s_waitcnt vmcnt(0)
	v_and_b32_e32 v25, 0xffff, v2
	v_lshlrev_b64 v[2:3], s0, v[25:26]
	s_add_u32 s0, s0, 8
	s_addc_u32 s1, s1, 0
	s_add_u32 s12, s12, 1
	s_addc_u32 s13, s13, 0
	v_or_b32_e32 v20, v2, v20
	s_cmp_lg_u32 s15, 0
	v_or_b32_e32 v21, v3, v21
	s_cbranch_scc1 .LBB9_83
	s_branch .LBB9_86
.LBB9_84:                               ;   in Loop: Header=BB9_32 Depth=1
	s_branch .LBB9_87
.LBB9_85:                               ;   in Loop: Header=BB9_32 Depth=1
	v_mov_b32_e32 v20, 0
	v_mov_b32_e32 v21, 0
.LBB9_86:                               ;   in Loop: Header=BB9_32 Depth=1
	s_cbranch_execnz .LBB9_88
.LBB9_87:                               ;   in Loop: Header=BB9_32 Depth=1
	global_load_dwordx2 v[20:21], v26, s[10:11]
.LBB9_88:                               ;   in Loop: Header=BB9_32 Depth=1
	v_readfirstlane_b32 s0, v30
	v_mov_b32_e32 v2, 0
	v_mov_b32_e32 v3, 0
	v_cmp_eq_u32_e64 s[0:1], s0, v30
	s_and_saveexec_b64 s[10:11], s[0:1]
	s_cbranch_execz .LBB9_94
; %bb.89:                               ;   in Loop: Header=BB9_32 Depth=1
	global_load_dwordx2 v[24:25], v26, s[2:3] offset:24 glc
	s_waitcnt vmcnt(0)
	buffer_wbinvl1_vol
	global_load_dwordx2 v[2:3], v26, s[2:3] offset:40
	global_load_dwordx2 v[22:23], v26, s[2:3]
	s_waitcnt vmcnt(1)
	v_and_b32_e32 v2, v2, v24
	v_and_b32_e32 v3, v3, v25
	v_mul_lo_u32 v3, v3, 24
	v_mul_hi_u32 v27, v2, 24
	v_mul_lo_u32 v2, v2, 24
	v_add_u32_e32 v3, v27, v3
	s_waitcnt vmcnt(0)
	v_add_co_u32_e32 v2, vcc, v22, v2
	v_addc_co_u32_e32 v3, vcc, v23, v3, vcc
	global_load_dwordx2 v[22:23], v[2:3], off glc
	s_waitcnt vmcnt(0)
	global_atomic_cmpswap_x2 v[2:3], v26, v[22:25], s[2:3] offset:24 glc
	s_waitcnt vmcnt(0)
	buffer_wbinvl1_vol
	v_cmp_ne_u64_e32 vcc, v[2:3], v[24:25]
	s_and_saveexec_b64 s[12:13], vcc
	s_cbranch_execz .LBB9_93
; %bb.90:                               ;   in Loop: Header=BB9_32 Depth=1
	s_mov_b64 s[14:15], 0
.LBB9_91:                               ;   Parent Loop BB9_32 Depth=1
                                        ; =>  This Inner Loop Header: Depth=2
	s_sleep 1
	global_load_dwordx2 v[22:23], v26, s[2:3] offset:40
	global_load_dwordx2 v[27:28], v26, s[2:3]
	v_mov_b32_e32 v25, v3
	v_mov_b32_e32 v24, v2
	s_waitcnt vmcnt(1)
	v_and_b32_e32 v2, v22, v24
	s_waitcnt vmcnt(0)
	v_mad_u64_u32 v[2:3], s[16:17], v2, 24, v[27:28]
	v_and_b32_e32 v22, v23, v25
	v_mad_u64_u32 v[22:23], s[16:17], v22, 24, v[3:4]
	v_mov_b32_e32 v3, v22
	global_load_dwordx2 v[22:23], v[2:3], off glc
	s_waitcnt vmcnt(0)
	global_atomic_cmpswap_x2 v[2:3], v26, v[22:25], s[2:3] offset:24 glc
	s_waitcnt vmcnt(0)
	buffer_wbinvl1_vol
	v_cmp_eq_u64_e32 vcc, v[2:3], v[24:25]
	s_or_b64 s[14:15], vcc, s[14:15]
	s_andn2_b64 exec, exec, s[14:15]
	s_cbranch_execnz .LBB9_91
; %bb.92:                               ;   in Loop: Header=BB9_32 Depth=1
	s_or_b64 exec, exec, s[14:15]
.LBB9_93:                               ;   in Loop: Header=BB9_32 Depth=1
	s_or_b64 exec, exec, s[12:13]
.LBB9_94:                               ;   in Loop: Header=BB9_32 Depth=1
	s_or_b64 exec, exec, s[10:11]
	global_load_dwordx2 v[27:28], v26, s[2:3] offset:40
	global_load_dwordx4 v[22:25], v26, s[2:3]
	v_readfirstlane_b32 s11, v3
	v_readfirstlane_b32 s10, v2
	s_mov_b64 s[12:13], exec
	s_waitcnt vmcnt(1)
	v_readfirstlane_b32 s14, v27
	v_readfirstlane_b32 s15, v28
	s_and_b64 s[14:15], s[14:15], s[10:11]
	s_mul_i32 s16, s15, 24
	s_mul_hi_u32 s17, s14, 24
	s_mul_i32 s18, s14, 24
	s_add_i32 s16, s17, s16
	v_mov_b32_e32 v2, s16
	s_waitcnt vmcnt(0)
	v_add_co_u32_e32 v27, vcc, s18, v22
	v_addc_co_u32_e32 v28, vcc, v23, v2, vcc
	s_and_saveexec_b64 s[16:17], s[0:1]
	s_cbranch_execz .LBB9_96
; %bb.95:                               ;   in Loop: Header=BB9_32 Depth=1
	v_mov_b32_e32 v2, s12
	v_mov_b32_e32 v3, s13
	global_store_dwordx4 v[27:28], v[2:5], off offset:8
.LBB9_96:                               ;   in Loop: Header=BB9_32 Depth=1
	s_or_b64 exec, exec, s[16:17]
	s_lshl_b64 s[12:13], s[14:15], 12
	v_cmp_gt_u64_e64 s[14:15], s[4:5], 56
	v_mov_b32_e32 v2, s13
	v_add_co_u32_e32 v24, vcc, s12, v24
	s_and_b64 s[12:13], s[14:15], exec
	s_cselect_b32 s12, 0, 2
	s_lshl_b32 s13, s8, 2
	v_addc_co_u32_e32 v31, vcc, v25, v2, vcc
	s_add_i32 s13, s13, 28
	v_and_b32_e32 v2, 0xffffff1f, v6
	s_and_b32 s13, s13, 0x1e0
	v_or_b32_e32 v2, s12, v2
	v_or_b32_e32 v6, s13, v2
	v_readfirstlane_b32 s12, v24
	v_readfirstlane_b32 s13, v31
	s_nop 4
	global_store_dwordx4 v29, v[6:9], s[12:13]
	global_store_dwordx4 v29, v[10:13], s[12:13] offset:16
	global_store_dwordx4 v29, v[14:17], s[12:13] offset:32
	global_store_dwordx4 v29, v[18:21], s[12:13] offset:48
	s_and_saveexec_b64 s[12:13], s[0:1]
	s_cbranch_execz .LBB9_104
; %bb.97:                               ;   in Loop: Header=BB9_32 Depth=1
	global_load_dwordx2 v[10:11], v26, s[2:3] offset:32 glc
	global_load_dwordx2 v[2:3], v26, s[2:3] offset:40
	v_mov_b32_e32 v8, s10
	v_mov_b32_e32 v9, s11
	s_waitcnt vmcnt(0)
	v_readfirstlane_b32 s14, v2
	v_readfirstlane_b32 s15, v3
	s_and_b64 s[14:15], s[14:15], s[10:11]
	s_mul_i32 s15, s15, 24
	s_mul_hi_u32 s16, s14, 24
	s_mul_i32 s14, s14, 24
	s_add_i32 s15, s16, s15
	v_mov_b32_e32 v3, s15
	v_add_co_u32_e32 v2, vcc, s14, v22
	v_addc_co_u32_e32 v3, vcc, v23, v3, vcc
	global_store_dwordx2 v[2:3], v[10:11], off
	s_waitcnt vmcnt(0)
	global_atomic_cmpswap_x2 v[8:9], v26, v[8:11], s[2:3] offset:32 glc
	s_waitcnt vmcnt(0)
	v_cmp_ne_u64_e32 vcc, v[8:9], v[10:11]
	s_and_saveexec_b64 s[14:15], vcc
	s_cbranch_execz .LBB9_100
; %bb.98:                               ;   in Loop: Header=BB9_32 Depth=1
	s_mov_b64 s[16:17], 0
.LBB9_99:                               ;   Parent Loop BB9_32 Depth=1
                                        ; =>  This Inner Loop Header: Depth=2
	s_sleep 1
	global_store_dwordx2 v[2:3], v[8:9], off
	v_mov_b32_e32 v6, s10
	v_mov_b32_e32 v7, s11
	s_waitcnt vmcnt(0)
	global_atomic_cmpswap_x2 v[6:7], v26, v[6:9], s[2:3] offset:32 glc
	s_waitcnt vmcnt(0)
	v_cmp_eq_u64_e32 vcc, v[6:7], v[8:9]
	v_mov_b32_e32 v9, v7
	s_or_b64 s[16:17], vcc, s[16:17]
	v_mov_b32_e32 v8, v6
	s_andn2_b64 exec, exec, s[16:17]
	s_cbranch_execnz .LBB9_99
.LBB9_100:                              ;   in Loop: Header=BB9_32 Depth=1
	s_or_b64 exec, exec, s[14:15]
	global_load_dwordx2 v[2:3], v26, s[2:3] offset:16
	s_mov_b64 s[16:17], exec
	v_mbcnt_lo_u32_b32 v6, s16, 0
	v_mbcnt_hi_u32_b32 v6, s17, v6
	v_cmp_eq_u32_e32 vcc, 0, v6
	s_and_saveexec_b64 s[14:15], vcc
	s_cbranch_execz .LBB9_102
; %bb.101:                              ;   in Loop: Header=BB9_32 Depth=1
	s_bcnt1_i32_b64 s16, s[16:17]
	v_mov_b32_e32 v25, s16
	s_waitcnt vmcnt(0)
	global_atomic_add_x2 v[2:3], v[25:26], off offset:8
.LBB9_102:                              ;   in Loop: Header=BB9_32 Depth=1
	s_or_b64 exec, exec, s[14:15]
	s_waitcnt vmcnt(0)
	global_load_dwordx2 v[6:7], v[2:3], off offset:16
	s_waitcnt vmcnt(0)
	v_cmp_eq_u64_e32 vcc, 0, v[6:7]
	s_cbranch_vccnz .LBB9_104
; %bb.103:                              ;   in Loop: Header=BB9_32 Depth=1
	global_load_dword v25, v[2:3], off offset:24
	s_waitcnt vmcnt(0)
	v_readfirstlane_b32 s14, v25
	s_and_b32 m0, s14, 0xffffff
	global_store_dwordx2 v[6:7], v[25:26], off
	s_sendmsg sendmsg(MSG_INTERRUPT)
.LBB9_104:                              ;   in Loop: Header=BB9_32 Depth=1
	s_or_b64 exec, exec, s[12:13]
	v_add_co_u32_e32 v2, vcc, v24, v29
	v_addc_co_u32_e32 v3, vcc, 0, v31, vcc
	s_branch .LBB9_108
.LBB9_105:                              ;   in Loop: Header=BB9_108 Depth=2
	s_or_b64 exec, exec, s[12:13]
	v_readfirstlane_b32 s12, v6
	s_cmp_eq_u32 s12, 0
	s_cbranch_scc1 .LBB9_107
; %bb.106:                              ;   in Loop: Header=BB9_108 Depth=2
	s_sleep 1
	s_cbranch_execnz .LBB9_108
	s_branch .LBB9_110
.LBB9_107:                              ;   in Loop: Header=BB9_32 Depth=1
	s_branch .LBB9_110
.LBB9_108:                              ;   Parent Loop BB9_32 Depth=1
                                        ; =>  This Inner Loop Header: Depth=2
	v_mov_b32_e32 v6, 1
	s_and_saveexec_b64 s[12:13], s[0:1]
	s_cbranch_execz .LBB9_105
; %bb.109:                              ;   in Loop: Header=BB9_108 Depth=2
	global_load_dword v6, v[27:28], off offset:20 glc
	s_waitcnt vmcnt(0)
	buffer_wbinvl1_vol
	v_and_b32_e32 v6, 1, v6
	s_branch .LBB9_105
.LBB9_110:                              ;   in Loop: Header=BB9_32 Depth=1
	global_load_dwordx4 v[6:9], v[2:3], off
	s_and_saveexec_b64 s[12:13], s[0:1]
	s_cbranch_execz .LBB9_31
; %bb.111:                              ;   in Loop: Header=BB9_32 Depth=1
	global_load_dwordx2 v[2:3], v26, s[2:3] offset:40
	global_load_dwordx2 v[12:13], v26, s[2:3] offset:24 glc
	global_load_dwordx2 v[8:9], v26, s[2:3]
	s_waitcnt vmcnt(2)
	v_readfirstlane_b32 s14, v2
	v_readfirstlane_b32 s15, v3
	s_add_u32 s16, s14, 1
	s_addc_u32 s17, s15, 0
	s_add_u32 s0, s16, s10
	s_addc_u32 s1, s17, s11
	s_cmp_eq_u64 s[0:1], 0
	s_cselect_b32 s1, s17, s1
	s_cselect_b32 s0, s16, s0
	s_and_b64 s[10:11], s[0:1], s[14:15]
	s_mul_i32 s11, s11, 24
	s_mul_hi_u32 s14, s10, 24
	s_mul_i32 s10, s10, 24
	s_add_i32 s11, s14, s11
	v_mov_b32_e32 v3, s11
	s_waitcnt vmcnt(0)
	v_add_co_u32_e32 v2, vcc, s10, v8
	v_addc_co_u32_e32 v3, vcc, v9, v3, vcc
	v_mov_b32_e32 v10, s0
	global_store_dwordx2 v[2:3], v[12:13], off
	v_mov_b32_e32 v11, s1
	s_waitcnt vmcnt(0)
	global_atomic_cmpswap_x2 v[10:11], v26, v[10:13], s[2:3] offset:24 glc
	s_waitcnt vmcnt(0)
	v_cmp_ne_u64_e32 vcc, v[10:11], v[12:13]
	s_and_b64 exec, exec, vcc
	s_cbranch_execz .LBB9_31
; %bb.112:                              ;   in Loop: Header=BB9_32 Depth=1
	s_mov_b64 s[10:11], 0
.LBB9_113:                              ;   Parent Loop BB9_32 Depth=1
                                        ; =>  This Inner Loop Header: Depth=2
	s_sleep 1
	global_store_dwordx2 v[2:3], v[10:11], off
	v_mov_b32_e32 v8, s0
	v_mov_b32_e32 v9, s1
	s_waitcnt vmcnt(0)
	global_atomic_cmpswap_x2 v[8:9], v26, v[8:11], s[2:3] offset:24 glc
	s_waitcnt vmcnt(0)
	v_cmp_eq_u64_e32 vcc, v[8:9], v[10:11]
	v_mov_b32_e32 v11, v9
	s_or_b64 s[10:11], vcc, s[10:11]
	v_mov_b32_e32 v10, v8
	s_andn2_b64 exec, exec, s[10:11]
	s_cbranch_execnz .LBB9_113
	s_branch .LBB9_31
.LBB9_114:
	s_branch .LBB9_141
.LBB9_115:
	s_cbranch_execz .LBB9_141
; %bb.116:
	v_readfirstlane_b32 s0, v30
	s_waitcnt vmcnt(0)
	v_mov_b32_e32 v8, 0
	v_mov_b32_e32 v9, 0
	v_cmp_eq_u32_e64 s[0:1], s0, v30
	s_and_saveexec_b64 s[4:5], s[0:1]
	s_cbranch_execz .LBB9_122
; %bb.117:
	v_mov_b32_e32 v2, 0
	global_load_dwordx2 v[5:6], v2, s[2:3] offset:24 glc
	s_waitcnt vmcnt(0)
	buffer_wbinvl1_vol
	global_load_dwordx2 v[3:4], v2, s[2:3] offset:40
	global_load_dwordx2 v[7:8], v2, s[2:3]
	s_waitcnt vmcnt(1)
	v_and_b32_e32 v3, v3, v5
	v_and_b32_e32 v4, v4, v6
	v_mul_lo_u32 v4, v4, 24
	v_mul_hi_u32 v9, v3, 24
	v_mul_lo_u32 v3, v3, 24
	v_add_u32_e32 v4, v9, v4
	s_waitcnt vmcnt(0)
	v_add_co_u32_e32 v3, vcc, v7, v3
	v_addc_co_u32_e32 v4, vcc, v8, v4, vcc
	global_load_dwordx2 v[3:4], v[3:4], off glc
	s_waitcnt vmcnt(0)
	global_atomic_cmpswap_x2 v[8:9], v2, v[3:6], s[2:3] offset:24 glc
	s_waitcnt vmcnt(0)
	buffer_wbinvl1_vol
	v_cmp_ne_u64_e32 vcc, v[8:9], v[5:6]
	s_and_saveexec_b64 s[6:7], vcc
	s_cbranch_execz .LBB9_121
; %bb.118:
	s_mov_b64 s[8:9], 0
.LBB9_119:                              ; =>This Inner Loop Header: Depth=1
	s_sleep 1
	global_load_dwordx2 v[3:4], v2, s[2:3] offset:40
	global_load_dwordx2 v[10:11], v2, s[2:3]
	v_mov_b32_e32 v5, v8
	v_mov_b32_e32 v6, v9
	s_waitcnt vmcnt(1)
	v_and_b32_e32 v3, v3, v5
	s_waitcnt vmcnt(0)
	v_mad_u64_u32 v[7:8], s[10:11], v3, 24, v[10:11]
	v_and_b32_e32 v4, v4, v6
	v_mov_b32_e32 v3, v8
	v_mad_u64_u32 v[3:4], s[10:11], v4, 24, v[3:4]
	v_mov_b32_e32 v8, v3
	global_load_dwordx2 v[3:4], v[7:8], off glc
	s_waitcnt vmcnt(0)
	global_atomic_cmpswap_x2 v[8:9], v2, v[3:6], s[2:3] offset:24 glc
	s_waitcnt vmcnt(0)
	buffer_wbinvl1_vol
	v_cmp_eq_u64_e32 vcc, v[8:9], v[5:6]
	s_or_b64 s[8:9], vcc, s[8:9]
	s_andn2_b64 exec, exec, s[8:9]
	s_cbranch_execnz .LBB9_119
; %bb.120:
	s_or_b64 exec, exec, s[8:9]
.LBB9_121:
	s_or_b64 exec, exec, s[6:7]
.LBB9_122:
	s_or_b64 exec, exec, s[4:5]
	v_mov_b32_e32 v2, 0
	global_load_dwordx2 v[10:11], v2, s[2:3] offset:40
	global_load_dwordx4 v[4:7], v2, s[2:3]
	v_readfirstlane_b32 s5, v9
	v_readfirstlane_b32 s4, v8
	s_mov_b64 s[6:7], exec
	s_waitcnt vmcnt(1)
	v_readfirstlane_b32 s8, v10
	v_readfirstlane_b32 s9, v11
	s_and_b64 s[8:9], s[8:9], s[4:5]
	s_mul_i32 s10, s9, 24
	s_mul_hi_u32 s11, s8, 24
	s_mul_i32 s12, s8, 24
	s_add_i32 s10, s11, s10
	v_mov_b32_e32 v3, s10
	s_waitcnt vmcnt(0)
	v_add_co_u32_e32 v8, vcc, s12, v4
	v_addc_co_u32_e32 v9, vcc, v5, v3, vcc
	s_and_saveexec_b64 s[10:11], s[0:1]
	s_cbranch_execz .LBB9_124
; %bb.123:
	v_mov_b32_e32 v11, s7
	v_mov_b32_e32 v10, s6
	;; [unrolled: 1-line block ×4, first 2 shown]
	global_store_dwordx4 v[8:9], v[10:13], off offset:8
.LBB9_124:
	s_or_b64 exec, exec, s[10:11]
	s_lshl_b64 s[6:7], s[8:9], 12
	v_mov_b32_e32 v3, s7
	v_add_co_u32_e32 v6, vcc, s6, v6
	v_addc_co_u32_e32 v7, vcc, v7, v3, vcc
	s_movk_i32 s6, 0xff1d
	v_and_or_b32 v0, v0, s6, 34
	s_mov_b32 s8, 0
	v_mov_b32_e32 v3, v2
	v_readfirstlane_b32 s6, v6
	v_readfirstlane_b32 s7, v7
	s_mov_b32 s9, s8
	s_mov_b32 s10, s8
	;; [unrolled: 1-line block ×3, first 2 shown]
	s_nop 1
	global_store_dwordx4 v29, v[0:3], s[6:7]
	s_nop 0
	v_mov_b32_e32 v0, s8
	v_mov_b32_e32 v1, s9
	;; [unrolled: 1-line block ×4, first 2 shown]
	global_store_dwordx4 v29, v[0:3], s[6:7] offset:16
	global_store_dwordx4 v29, v[0:3], s[6:7] offset:32
	global_store_dwordx4 v29, v[0:3], s[6:7] offset:48
	s_and_saveexec_b64 s[6:7], s[0:1]
	s_cbranch_execz .LBB9_132
; %bb.125:
	v_mov_b32_e32 v6, 0
	global_load_dwordx2 v[12:13], v6, s[2:3] offset:32 glc
	global_load_dwordx2 v[0:1], v6, s[2:3] offset:40
	v_mov_b32_e32 v10, s4
	v_mov_b32_e32 v11, s5
	s_waitcnt vmcnt(0)
	v_readfirstlane_b32 s8, v0
	v_readfirstlane_b32 s9, v1
	s_and_b64 s[8:9], s[8:9], s[4:5]
	s_mul_i32 s9, s9, 24
	s_mul_hi_u32 s10, s8, 24
	s_mul_i32 s8, s8, 24
	s_add_i32 s9, s10, s9
	v_mov_b32_e32 v0, s9
	v_add_co_u32_e32 v4, vcc, s8, v4
	v_addc_co_u32_e32 v5, vcc, v5, v0, vcc
	global_store_dwordx2 v[4:5], v[12:13], off
	s_waitcnt vmcnt(0)
	global_atomic_cmpswap_x2 v[2:3], v6, v[10:13], s[2:3] offset:32 glc
	s_waitcnt vmcnt(0)
	v_cmp_ne_u64_e32 vcc, v[2:3], v[12:13]
	s_and_saveexec_b64 s[8:9], vcc
	s_cbranch_execz .LBB9_128
; %bb.126:
	s_mov_b64 s[10:11], 0
.LBB9_127:                              ; =>This Inner Loop Header: Depth=1
	s_sleep 1
	global_store_dwordx2 v[4:5], v[2:3], off
	v_mov_b32_e32 v0, s4
	v_mov_b32_e32 v1, s5
	s_waitcnt vmcnt(0)
	global_atomic_cmpswap_x2 v[0:1], v6, v[0:3], s[2:3] offset:32 glc
	s_waitcnt vmcnt(0)
	v_cmp_eq_u64_e32 vcc, v[0:1], v[2:3]
	v_mov_b32_e32 v3, v1
	s_or_b64 s[10:11], vcc, s[10:11]
	v_mov_b32_e32 v2, v0
	s_andn2_b64 exec, exec, s[10:11]
	s_cbranch_execnz .LBB9_127
.LBB9_128:
	s_or_b64 exec, exec, s[8:9]
	v_mov_b32_e32 v3, 0
	global_load_dwordx2 v[0:1], v3, s[2:3] offset:16
	s_mov_b64 s[8:9], exec
	v_mbcnt_lo_u32_b32 v2, s8, 0
	v_mbcnt_hi_u32_b32 v2, s9, v2
	v_cmp_eq_u32_e32 vcc, 0, v2
	s_and_saveexec_b64 s[10:11], vcc
	s_cbranch_execz .LBB9_130
; %bb.129:
	s_bcnt1_i32_b64 s8, s[8:9]
	v_mov_b32_e32 v2, s8
	s_waitcnt vmcnt(0)
	global_atomic_add_x2 v[0:1], v[2:3], off offset:8
.LBB9_130:
	s_or_b64 exec, exec, s[10:11]
	s_waitcnt vmcnt(0)
	global_load_dwordx2 v[2:3], v[0:1], off offset:16
	s_waitcnt vmcnt(0)
	v_cmp_eq_u64_e32 vcc, 0, v[2:3]
	s_cbranch_vccnz .LBB9_132
; %bb.131:
	global_load_dword v0, v[0:1], off offset:24
	v_mov_b32_e32 v1, 0
	s_waitcnt vmcnt(0)
	v_readfirstlane_b32 s8, v0
	s_and_b32 m0, s8, 0xffffff
	global_store_dwordx2 v[2:3], v[0:1], off
	s_sendmsg sendmsg(MSG_INTERRUPT)
.LBB9_132:
	s_or_b64 exec, exec, s[6:7]
	s_branch .LBB9_136
.LBB9_133:                              ;   in Loop: Header=BB9_136 Depth=1
	s_or_b64 exec, exec, s[6:7]
	v_readfirstlane_b32 s6, v0
	s_cmp_eq_u32 s6, 0
	s_cbranch_scc1 .LBB9_135
; %bb.134:                              ;   in Loop: Header=BB9_136 Depth=1
	s_sleep 1
	s_cbranch_execnz .LBB9_136
	s_branch .LBB9_138
.LBB9_135:
	s_branch .LBB9_138
.LBB9_136:                              ; =>This Inner Loop Header: Depth=1
	v_mov_b32_e32 v0, 1
	s_and_saveexec_b64 s[6:7], s[0:1]
	s_cbranch_execz .LBB9_133
; %bb.137:                              ;   in Loop: Header=BB9_136 Depth=1
	global_load_dword v0, v[8:9], off offset:20 glc
	s_waitcnt vmcnt(0)
	buffer_wbinvl1_vol
	v_and_b32_e32 v0, 1, v0
	s_branch .LBB9_133
.LBB9_138:
	s_and_saveexec_b64 s[6:7], s[0:1]
	s_cbranch_execz .LBB9_141
; %bb.139:
	v_mov_b32_e32 v6, 0
	global_load_dwordx2 v[0:1], v6, s[2:3] offset:40
	global_load_dwordx2 v[9:10], v6, s[2:3] offset:24 glc
	global_load_dwordx2 v[2:3], v6, s[2:3]
	s_waitcnt vmcnt(2)
	v_readfirstlane_b32 s6, v0
	v_readfirstlane_b32 s7, v1
	s_add_u32 s8, s6, 1
	s_addc_u32 s9, s7, 0
	s_add_u32 s0, s8, s4
	s_addc_u32 s1, s9, s5
	s_cmp_eq_u64 s[0:1], 0
	s_cselect_b32 s1, s9, s1
	s_cselect_b32 s0, s8, s0
	s_and_b64 s[4:5], s[0:1], s[6:7]
	s_mul_i32 s5, s5, 24
	s_mul_hi_u32 s6, s4, 24
	s_mul_i32 s4, s4, 24
	s_add_i32 s5, s6, s5
	v_mov_b32_e32 v0, s5
	s_waitcnt vmcnt(0)
	v_add_co_u32_e32 v4, vcc, s4, v2
	v_addc_co_u32_e32 v5, vcc, v3, v0, vcc
	v_mov_b32_e32 v7, s0
	global_store_dwordx2 v[4:5], v[9:10], off
	v_mov_b32_e32 v8, s1
	s_waitcnt vmcnt(0)
	global_atomic_cmpswap_x2 v[2:3], v6, v[7:10], s[2:3] offset:24 glc
	s_mov_b64 s[4:5], 0
	s_waitcnt vmcnt(0)
	v_cmp_ne_u64_e32 vcc, v[2:3], v[9:10]
	s_and_b64 exec, exec, vcc
	s_cbranch_execz .LBB9_141
.LBB9_140:                              ; =>This Inner Loop Header: Depth=1
	s_sleep 1
	global_store_dwordx2 v[4:5], v[2:3], off
	v_mov_b32_e32 v0, s0
	v_mov_b32_e32 v1, s1
	s_waitcnt vmcnt(0)
	global_atomic_cmpswap_x2 v[0:1], v6, v[0:3], s[2:3] offset:24 glc
	s_waitcnt vmcnt(0)
	v_cmp_eq_u64_e32 vcc, v[0:1], v[2:3]
	v_mov_b32_e32 v3, v1
	s_or_b64 s[4:5], vcc, s[4:5]
	v_mov_b32_e32 v2, v0
	s_andn2_b64 exec, exec, s[4:5]
	s_cbranch_execnz .LBB9_140
.LBB9_141:
	s_endpgm
	.section	.rodata,"a",@progbits
	.p2align	6, 0x0
	.amdhsa_kernel _ZN2at6native30tinygemm_m16n8k16_chunk_kernelINS0_10ALayout_RMILNS0_14KReductionTypeE0EEENS0_15BLayout_TC_int4ILi2ELi256EEES4_Li8ELi8EEEvPKvS8_S8_Pviiiiii
		.amdhsa_group_segment_fixed_size 0
		.amdhsa_private_segment_fixed_size 0
		.amdhsa_kernarg_size 312
		.amdhsa_user_sgpr_count 6
		.amdhsa_user_sgpr_private_segment_buffer 1
		.amdhsa_user_sgpr_dispatch_ptr 0
		.amdhsa_user_sgpr_queue_ptr 0
		.amdhsa_user_sgpr_kernarg_segment_ptr 1
		.amdhsa_user_sgpr_dispatch_id 0
		.amdhsa_user_sgpr_flat_scratch_init 0
		.amdhsa_user_sgpr_private_segment_size 0
		.amdhsa_uses_dynamic_stack 0
		.amdhsa_system_sgpr_private_segment_wavefront_offset 0
		.amdhsa_system_sgpr_workgroup_id_x 1
		.amdhsa_system_sgpr_workgroup_id_y 0
		.amdhsa_system_sgpr_workgroup_id_z 0
		.amdhsa_system_sgpr_workgroup_info 0
		.amdhsa_system_vgpr_workitem_id 0
		.amdhsa_next_free_vgpr 32
		.amdhsa_next_free_sgpr 19
		.amdhsa_reserve_vcc 1
		.amdhsa_reserve_flat_scratch 0
		.amdhsa_float_round_mode_32 0
		.amdhsa_float_round_mode_16_64 0
		.amdhsa_float_denorm_mode_32 3
		.amdhsa_float_denorm_mode_16_64 3
		.amdhsa_dx10_clamp 1
		.amdhsa_ieee_mode 1
		.amdhsa_fp16_overflow 0
		.amdhsa_exception_fp_ieee_invalid_op 0
		.amdhsa_exception_fp_denorm_src 0
		.amdhsa_exception_fp_ieee_div_zero 0
		.amdhsa_exception_fp_ieee_overflow 0
		.amdhsa_exception_fp_ieee_underflow 0
		.amdhsa_exception_fp_ieee_inexact 0
		.amdhsa_exception_int_div_zero 0
	.end_amdhsa_kernel
	.section	.text._ZN2at6native30tinygemm_m16n8k16_chunk_kernelINS0_10ALayout_RMILNS0_14KReductionTypeE0EEENS0_15BLayout_TC_int4ILi2ELi256EEES4_Li8ELi8EEEvPKvS8_S8_Pviiiiii,"axG",@progbits,_ZN2at6native30tinygemm_m16n8k16_chunk_kernelINS0_10ALayout_RMILNS0_14KReductionTypeE0EEENS0_15BLayout_TC_int4ILi2ELi256EEES4_Li8ELi8EEEvPKvS8_S8_Pviiiiii,comdat
.Lfunc_end9:
	.size	_ZN2at6native30tinygemm_m16n8k16_chunk_kernelINS0_10ALayout_RMILNS0_14KReductionTypeE0EEENS0_15BLayout_TC_int4ILi2ELi256EEES4_Li8ELi8EEEvPKvS8_S8_Pviiiiii, .Lfunc_end9-_ZN2at6native30tinygemm_m16n8k16_chunk_kernelINS0_10ALayout_RMILNS0_14KReductionTypeE0EEENS0_15BLayout_TC_int4ILi2ELi256EEES4_Li8ELi8EEEvPKvS8_S8_Pviiiiii
                                        ; -- End function
	.set _ZN2at6native30tinygemm_m16n8k16_chunk_kernelINS0_10ALayout_RMILNS0_14KReductionTypeE0EEENS0_15BLayout_TC_int4ILi2ELi256EEES4_Li8ELi8EEEvPKvS8_S8_Pviiiiii.num_vgpr, 32
	.set _ZN2at6native30tinygemm_m16n8k16_chunk_kernelINS0_10ALayout_RMILNS0_14KReductionTypeE0EEENS0_15BLayout_TC_int4ILi2ELi256EEES4_Li8ELi8EEEvPKvS8_S8_Pviiiiii.num_agpr, 0
	.set _ZN2at6native30tinygemm_m16n8k16_chunk_kernelINS0_10ALayout_RMILNS0_14KReductionTypeE0EEENS0_15BLayout_TC_int4ILi2ELi256EEES4_Li8ELi8EEEvPKvS8_S8_Pviiiiii.numbered_sgpr, 19
	.set _ZN2at6native30tinygemm_m16n8k16_chunk_kernelINS0_10ALayout_RMILNS0_14KReductionTypeE0EEENS0_15BLayout_TC_int4ILi2ELi256EEES4_Li8ELi8EEEvPKvS8_S8_Pviiiiii.num_named_barrier, 0
	.set _ZN2at6native30tinygemm_m16n8k16_chunk_kernelINS0_10ALayout_RMILNS0_14KReductionTypeE0EEENS0_15BLayout_TC_int4ILi2ELi256EEES4_Li8ELi8EEEvPKvS8_S8_Pviiiiii.private_seg_size, 0
	.set _ZN2at6native30tinygemm_m16n8k16_chunk_kernelINS0_10ALayout_RMILNS0_14KReductionTypeE0EEENS0_15BLayout_TC_int4ILi2ELi256EEES4_Li8ELi8EEEvPKvS8_S8_Pviiiiii.uses_vcc, 1
	.set _ZN2at6native30tinygemm_m16n8k16_chunk_kernelINS0_10ALayout_RMILNS0_14KReductionTypeE0EEENS0_15BLayout_TC_int4ILi2ELi256EEES4_Li8ELi8EEEvPKvS8_S8_Pviiiiii.uses_flat_scratch, 0
	.set _ZN2at6native30tinygemm_m16n8k16_chunk_kernelINS0_10ALayout_RMILNS0_14KReductionTypeE0EEENS0_15BLayout_TC_int4ILi2ELi256EEES4_Li8ELi8EEEvPKvS8_S8_Pviiiiii.has_dyn_sized_stack, 0
	.set _ZN2at6native30tinygemm_m16n8k16_chunk_kernelINS0_10ALayout_RMILNS0_14KReductionTypeE0EEENS0_15BLayout_TC_int4ILi2ELi256EEES4_Li8ELi8EEEvPKvS8_S8_Pviiiiii.has_recursion, 0
	.set _ZN2at6native30tinygemm_m16n8k16_chunk_kernelINS0_10ALayout_RMILNS0_14KReductionTypeE0EEENS0_15BLayout_TC_int4ILi2ELi256EEES4_Li8ELi8EEEvPKvS8_S8_Pviiiiii.has_indirect_call, 0
	.section	.AMDGPU.csdata,"",@progbits
; Kernel info:
; codeLenInByte = 4752
; TotalNumSgprs: 23
; NumVgprs: 32
; ScratchSize: 0
; MemoryBound: 0
; FloatMode: 240
; IeeeMode: 1
; LDSByteSize: 0 bytes/workgroup (compile time only)
; SGPRBlocks: 2
; VGPRBlocks: 7
; NumSGPRsForWavesPerEU: 23
; NumVGPRsForWavesPerEU: 32
; Occupancy: 8
; WaveLimiterHint : 1
; COMPUTE_PGM_RSRC2:SCRATCH_EN: 0
; COMPUTE_PGM_RSRC2:USER_SGPR: 6
; COMPUTE_PGM_RSRC2:TRAP_HANDLER: 0
; COMPUTE_PGM_RSRC2:TGID_X_EN: 1
; COMPUTE_PGM_RSRC2:TGID_Y_EN: 0
; COMPUTE_PGM_RSRC2:TGID_Z_EN: 0
; COMPUTE_PGM_RSRC2:TIDIG_COMP_CNT: 0
	.section	.text._ZN2at6native30tinygemm_m16n8k16_chunk_kernelINS0_10ALayout_RMILNS0_14KReductionTypeE0EEENS0_15BLayout_TC_int4ILi4ELi256EEES4_Li8ELi8EEEvPKvS8_S8_Pviiiiii,"axG",@progbits,_ZN2at6native30tinygemm_m16n8k16_chunk_kernelINS0_10ALayout_RMILNS0_14KReductionTypeE0EEENS0_15BLayout_TC_int4ILi4ELi256EEES4_Li8ELi8EEEvPKvS8_S8_Pviiiiii,comdat
	.protected	_ZN2at6native30tinygemm_m16n8k16_chunk_kernelINS0_10ALayout_RMILNS0_14KReductionTypeE0EEENS0_15BLayout_TC_int4ILi4ELi256EEES4_Li8ELi8EEEvPKvS8_S8_Pviiiiii ; -- Begin function _ZN2at6native30tinygemm_m16n8k16_chunk_kernelINS0_10ALayout_RMILNS0_14KReductionTypeE0EEENS0_15BLayout_TC_int4ILi4ELi256EEES4_Li8ELi8EEEvPKvS8_S8_Pviiiiii
	.globl	_ZN2at6native30tinygemm_m16n8k16_chunk_kernelINS0_10ALayout_RMILNS0_14KReductionTypeE0EEENS0_15BLayout_TC_int4ILi4ELi256EEES4_Li8ELi8EEEvPKvS8_S8_Pviiiiii
	.p2align	8
	.type	_ZN2at6native30tinygemm_m16n8k16_chunk_kernelINS0_10ALayout_RMILNS0_14KReductionTypeE0EEENS0_15BLayout_TC_int4ILi4ELi256EEES4_Li8ELi8EEEvPKvS8_S8_Pviiiiii,@function
_ZN2at6native30tinygemm_m16n8k16_chunk_kernelINS0_10ALayout_RMILNS0_14KReductionTypeE0EEENS0_15BLayout_TC_int4ILi4ELi256EEES4_Li8ELi8EEEvPKvS8_S8_Pviiiiii: ; @_ZN2at6native30tinygemm_m16n8k16_chunk_kernelINS0_10ALayout_RMILNS0_14KReductionTypeE0EEENS0_15BLayout_TC_int4ILi4ELi256EEES4_Li8ELi8EEEvPKvS8_S8_Pviiiiii
; %bb.0:
	s_load_dwordx2 s[2:3], s[4:5], 0x88
	v_mbcnt_lo_u32_b32 v0, -1, 0
	v_mbcnt_hi_u32_b32 v30, -1, v0
	v_readfirstlane_b32 s0, v30
	v_mov_b32_e32 v5, 0
	v_mov_b32_e32 v6, 0
	v_cmp_eq_u32_e64 s[0:1], s0, v30
	s_and_saveexec_b64 s[4:5], s[0:1]
	s_cbranch_execz .LBB10_6
; %bb.1:
	v_mov_b32_e32 v0, 0
	s_waitcnt lgkmcnt(0)
	global_load_dwordx2 v[3:4], v0, s[2:3] offset:24 glc
	s_waitcnt vmcnt(0)
	buffer_wbinvl1_vol
	global_load_dwordx2 v[1:2], v0, s[2:3] offset:40
	global_load_dwordx2 v[5:6], v0, s[2:3]
	s_waitcnt vmcnt(1)
	v_and_b32_e32 v1, v1, v3
	v_and_b32_e32 v2, v2, v4
	v_mul_lo_u32 v2, v2, 24
	v_mul_hi_u32 v7, v1, 24
	v_mul_lo_u32 v1, v1, 24
	v_add_u32_e32 v2, v7, v2
	s_waitcnt vmcnt(0)
	v_add_co_u32_e32 v1, vcc, v5, v1
	v_addc_co_u32_e32 v2, vcc, v6, v2, vcc
	global_load_dwordx2 v[1:2], v[1:2], off glc
	s_waitcnt vmcnt(0)
	global_atomic_cmpswap_x2 v[5:6], v0, v[1:4], s[2:3] offset:24 glc
	s_waitcnt vmcnt(0)
	buffer_wbinvl1_vol
	v_cmp_ne_u64_e32 vcc, v[5:6], v[3:4]
	s_and_saveexec_b64 s[6:7], vcc
	s_cbranch_execz .LBB10_5
; %bb.2:
	s_mov_b64 s[8:9], 0
.LBB10_3:                               ; =>This Inner Loop Header: Depth=1
	s_sleep 1
	global_load_dwordx2 v[1:2], v0, s[2:3] offset:40
	global_load_dwordx2 v[7:8], v0, s[2:3]
	v_mov_b32_e32 v3, v5
	v_mov_b32_e32 v4, v6
	s_waitcnt vmcnt(1)
	v_and_b32_e32 v1, v1, v3
	s_waitcnt vmcnt(0)
	v_mad_u64_u32 v[5:6], s[10:11], v1, 24, v[7:8]
	v_and_b32_e32 v2, v2, v4
	v_mov_b32_e32 v1, v6
	v_mad_u64_u32 v[1:2], s[10:11], v2, 24, v[1:2]
	v_mov_b32_e32 v6, v1
	global_load_dwordx2 v[1:2], v[5:6], off glc
	s_waitcnt vmcnt(0)
	global_atomic_cmpswap_x2 v[5:6], v0, v[1:4], s[2:3] offset:24 glc
	s_waitcnt vmcnt(0)
	buffer_wbinvl1_vol
	v_cmp_eq_u64_e32 vcc, v[5:6], v[3:4]
	s_or_b64 s[8:9], vcc, s[8:9]
	s_andn2_b64 exec, exec, s[8:9]
	s_cbranch_execnz .LBB10_3
; %bb.4:
	s_or_b64 exec, exec, s[8:9]
.LBB10_5:
	s_or_b64 exec, exec, s[6:7]
.LBB10_6:
	s_or_b64 exec, exec, s[4:5]
	v_mov_b32_e32 v4, 0
	s_waitcnt lgkmcnt(0)
	global_load_dwordx2 v[7:8], v4, s[2:3] offset:40
	global_load_dwordx4 v[0:3], v4, s[2:3]
	v_readfirstlane_b32 s5, v6
	v_readfirstlane_b32 s4, v5
	s_mov_b64 s[6:7], exec
	s_waitcnt vmcnt(1)
	v_readfirstlane_b32 s8, v7
	v_readfirstlane_b32 s9, v8
	s_and_b64 s[8:9], s[8:9], s[4:5]
	s_mul_i32 s10, s9, 24
	s_mul_hi_u32 s11, s8, 24
	s_mul_i32 s12, s8, 24
	s_add_i32 s10, s11, s10
	v_mov_b32_e32 v5, s10
	s_waitcnt vmcnt(0)
	v_add_co_u32_e32 v7, vcc, s12, v0
	v_addc_co_u32_e32 v8, vcc, v1, v5, vcc
	s_and_saveexec_b64 s[10:11], s[0:1]
	s_cbranch_execz .LBB10_8
; %bb.7:
	v_mov_b32_e32 v10, s7
	v_mov_b32_e32 v9, s6
	;; [unrolled: 1-line block ×4, first 2 shown]
	global_store_dwordx4 v[7:8], v[9:12], off offset:8
.LBB10_8:
	s_or_b64 exec, exec, s[10:11]
	s_lshl_b64 s[6:7], s[8:9], 12
	v_mov_b32_e32 v5, s7
	v_add_co_u32_e32 v2, vcc, s6, v2
	v_addc_co_u32_e32 v11, vcc, v3, v5, vcc
	v_lshlrev_b32_e32 v29, 6, v30
	s_mov_b32 s8, 0
	v_mov_b32_e32 v3, 33
	v_mov_b32_e32 v5, v4
	;; [unrolled: 1-line block ×3, first 2 shown]
	v_readfirstlane_b32 s6, v2
	v_readfirstlane_b32 s7, v11
	v_add_co_u32_e32 v9, vcc, v2, v29
	s_mov_b32 s9, s8
	s_mov_b32 s10, s8
	;; [unrolled: 1-line block ×3, first 2 shown]
	s_nop 0
	global_store_dwordx4 v29, v[3:6], s[6:7]
	v_mov_b32_e32 v2, s8
	v_addc_co_u32_e32 v10, vcc, 0, v11, vcc
	v_mov_b32_e32 v3, s9
	v_mov_b32_e32 v4, s10
	;; [unrolled: 1-line block ×3, first 2 shown]
	global_store_dwordx4 v29, v[2:5], s[6:7] offset:16
	global_store_dwordx4 v29, v[2:5], s[6:7] offset:32
	;; [unrolled: 1-line block ×3, first 2 shown]
	s_and_saveexec_b64 s[6:7], s[0:1]
	s_cbranch_execz .LBB10_16
; %bb.9:
	v_mov_b32_e32 v6, 0
	global_load_dwordx2 v[13:14], v6, s[2:3] offset:32 glc
	global_load_dwordx2 v[2:3], v6, s[2:3] offset:40
	v_mov_b32_e32 v11, s4
	v_mov_b32_e32 v12, s5
	s_waitcnt vmcnt(0)
	v_and_b32_e32 v2, s4, v2
	v_and_b32_e32 v3, s5, v3
	v_mul_lo_u32 v3, v3, 24
	v_mul_hi_u32 v4, v2, 24
	v_mul_lo_u32 v2, v2, 24
	v_add_u32_e32 v3, v4, v3
	v_add_co_u32_e32 v4, vcc, v0, v2
	v_addc_co_u32_e32 v5, vcc, v1, v3, vcc
	global_store_dwordx2 v[4:5], v[13:14], off
	s_waitcnt vmcnt(0)
	global_atomic_cmpswap_x2 v[2:3], v6, v[11:14], s[2:3] offset:32 glc
	s_waitcnt vmcnt(0)
	v_cmp_ne_u64_e32 vcc, v[2:3], v[13:14]
	s_and_saveexec_b64 s[8:9], vcc
	s_cbranch_execz .LBB10_12
; %bb.10:
	s_mov_b64 s[10:11], 0
.LBB10_11:                              ; =>This Inner Loop Header: Depth=1
	s_sleep 1
	global_store_dwordx2 v[4:5], v[2:3], off
	v_mov_b32_e32 v0, s4
	v_mov_b32_e32 v1, s5
	s_waitcnt vmcnt(0)
	global_atomic_cmpswap_x2 v[0:1], v6, v[0:3], s[2:3] offset:32 glc
	s_waitcnt vmcnt(0)
	v_cmp_eq_u64_e32 vcc, v[0:1], v[2:3]
	v_mov_b32_e32 v3, v1
	s_or_b64 s[10:11], vcc, s[10:11]
	v_mov_b32_e32 v2, v0
	s_andn2_b64 exec, exec, s[10:11]
	s_cbranch_execnz .LBB10_11
.LBB10_12:
	s_or_b64 exec, exec, s[8:9]
	v_mov_b32_e32 v3, 0
	global_load_dwordx2 v[0:1], v3, s[2:3] offset:16
	s_mov_b64 s[8:9], exec
	v_mbcnt_lo_u32_b32 v2, s8, 0
	v_mbcnt_hi_u32_b32 v2, s9, v2
	v_cmp_eq_u32_e32 vcc, 0, v2
	s_and_saveexec_b64 s[10:11], vcc
	s_cbranch_execz .LBB10_14
; %bb.13:
	s_bcnt1_i32_b64 s8, s[8:9]
	v_mov_b32_e32 v2, s8
	s_waitcnt vmcnt(0)
	global_atomic_add_x2 v[0:1], v[2:3], off offset:8
.LBB10_14:
	s_or_b64 exec, exec, s[10:11]
	s_waitcnt vmcnt(0)
	global_load_dwordx2 v[2:3], v[0:1], off offset:16
	s_waitcnt vmcnt(0)
	v_cmp_eq_u64_e32 vcc, 0, v[2:3]
	s_cbranch_vccnz .LBB10_16
; %bb.15:
	global_load_dword v0, v[0:1], off offset:24
	v_mov_b32_e32 v1, 0
	s_waitcnt vmcnt(0)
	v_readfirstlane_b32 s8, v0
	s_and_b32 m0, s8, 0xffffff
	global_store_dwordx2 v[2:3], v[0:1], off
	s_sendmsg sendmsg(MSG_INTERRUPT)
.LBB10_16:
	s_or_b64 exec, exec, s[6:7]
	s_branch .LBB10_20
.LBB10_17:                              ;   in Loop: Header=BB10_20 Depth=1
	s_or_b64 exec, exec, s[6:7]
	v_readfirstlane_b32 s6, v0
	s_cmp_eq_u32 s6, 0
	s_cbranch_scc1 .LBB10_19
; %bb.18:                               ;   in Loop: Header=BB10_20 Depth=1
	s_sleep 1
	s_cbranch_execnz .LBB10_20
	s_branch .LBB10_22
.LBB10_19:
	s_branch .LBB10_22
.LBB10_20:                              ; =>This Inner Loop Header: Depth=1
	v_mov_b32_e32 v0, 1
	s_and_saveexec_b64 s[6:7], s[0:1]
	s_cbranch_execz .LBB10_17
; %bb.21:                               ;   in Loop: Header=BB10_20 Depth=1
	global_load_dword v0, v[7:8], off offset:20 glc
	s_waitcnt vmcnt(0)
	buffer_wbinvl1_vol
	v_and_b32_e32 v0, 1, v0
	s_branch .LBB10_17
.LBB10_22:
	global_load_dwordx2 v[0:1], v[9:10], off
	s_and_saveexec_b64 s[6:7], s[0:1]
	s_cbranch_execz .LBB10_25
; %bb.23:
	v_mov_b32_e32 v8, 0
	global_load_dwordx2 v[2:3], v8, s[2:3] offset:40
	global_load_dwordx2 v[11:12], v8, s[2:3] offset:24 glc
	global_load_dwordx2 v[4:5], v8, s[2:3]
	s_waitcnt vmcnt(2)
	v_readfirstlane_b32 s8, v2
	v_readfirstlane_b32 s9, v3
	s_add_u32 s10, s8, 1
	s_addc_u32 s11, s9, 0
	s_add_u32 s0, s10, s4
	s_addc_u32 s1, s11, s5
	s_cmp_eq_u64 s[0:1], 0
	s_cselect_b32 s1, s11, s1
	s_cselect_b32 s0, s10, s0
	s_and_b64 s[4:5], s[0:1], s[8:9]
	s_mul_i32 s5, s5, 24
	s_mul_hi_u32 s8, s4, 24
	s_mul_i32 s4, s4, 24
	s_add_i32 s5, s8, s5
	v_mov_b32_e32 v2, s5
	s_waitcnt vmcnt(0)
	v_add_co_u32_e32 v6, vcc, s4, v4
	v_addc_co_u32_e32 v7, vcc, v5, v2, vcc
	v_mov_b32_e32 v9, s0
	global_store_dwordx2 v[6:7], v[11:12], off
	v_mov_b32_e32 v10, s1
	s_waitcnt vmcnt(0)
	global_atomic_cmpswap_x2 v[4:5], v8, v[9:12], s[2:3] offset:24 glc
	s_mov_b64 s[4:5], 0
	s_waitcnt vmcnt(0)
	v_cmp_ne_u64_e32 vcc, v[4:5], v[11:12]
	s_and_b64 exec, exec, vcc
	s_cbranch_execz .LBB10_25
.LBB10_24:                              ; =>This Inner Loop Header: Depth=1
	s_sleep 1
	global_store_dwordx2 v[6:7], v[4:5], off
	v_mov_b32_e32 v2, s0
	v_mov_b32_e32 v3, s1
	s_waitcnt vmcnt(0)
	global_atomic_cmpswap_x2 v[2:3], v8, v[2:5], s[2:3] offset:24 glc
	s_waitcnt vmcnt(0)
	v_cmp_eq_u64_e32 vcc, v[2:3], v[4:5]
	v_mov_b32_e32 v5, v3
	s_or_b64 s[4:5], vcc, s[4:5]
	v_mov_b32_e32 v4, v2
	s_andn2_b64 exec, exec, s[4:5]
	s_cbranch_execnz .LBB10_24
.LBB10_25:
	s_or_b64 exec, exec, s[6:7]
	s_getpc_b64 s[4:5]
	s_add_u32 s4, s4, .str@rel32@lo+4
	s_addc_u32 s5, s5, .str@rel32@hi+12
	s_cmp_lg_u64 s[4:5], 0
	s_cselect_b64 s[0:1], -1, 0
	s_cmp_eq_u64 s[4:5], 0
	s_mov_b64 s[4:5], 0
	s_cbranch_scc1 .LBB10_29
; %bb.26:
	v_mov_b32_e32 v2, 0
	s_getpc_b64 s[4:5]
	s_add_u32 s4, s4, .str@rel32@lo+3
	s_addc_u32 s5, s5, .str@rel32@hi+11
.LBB10_27:                              ; =>This Inner Loop Header: Depth=1
	global_load_ubyte v3, v2, s[4:5] offset:1
	s_add_u32 s6, s4, 1
	s_addc_u32 s7, s5, 0
	s_mov_b64 s[4:5], s[6:7]
	s_waitcnt vmcnt(0)
	v_cmp_ne_u32_e32 vcc, 0, v3
	s_cbranch_vccnz .LBB10_27
; %bb.28:
	s_getpc_b64 s[4:5]
	s_add_u32 s4, s4, .str@rel32@lo+4
	s_addc_u32 s5, s5, .str@rel32@hi+12
	s_sub_u32 s4, s6, s4
	s_subb_u32 s5, s7, s5
	s_add_u32 s4, s4, 1
	s_addc_u32 s5, s5, 0
.LBB10_29:
	s_and_b64 vcc, exec, s[0:1]
	s_cbranch_vccz .LBB10_115
; %bb.30:
	s_waitcnt vmcnt(0)
	v_and_b32_e32 v6, -3, v0
	v_mov_b32_e32 v7, v1
	v_mov_b32_e32 v26, 0
	;; [unrolled: 1-line block ×4, first 2 shown]
	s_getpc_b64 s[6:7]
	s_add_u32 s6, s6, .str@rel32@lo+4
	s_addc_u32 s7, s7, .str@rel32@hi+12
	s_branch .LBB10_32
.LBB10_31:                              ;   in Loop: Header=BB10_32 Depth=1
	s_or_b64 exec, exec, s[12:13]
	s_sub_u32 s4, s4, s8
	s_subb_u32 s5, s5, s9
	s_add_u32 s6, s6, s8
	s_addc_u32 s7, s7, s9
	s_cmp_lg_u64 s[4:5], 0
	s_cbranch_scc0 .LBB10_114
.LBB10_32:                              ; =>This Loop Header: Depth=1
                                        ;     Child Loop BB10_35 Depth 2
                                        ;     Child Loop BB10_43 Depth 2
                                        ;     Child Loop BB10_51 Depth 2
                                        ;     Child Loop BB10_59 Depth 2
                                        ;     Child Loop BB10_67 Depth 2
                                        ;     Child Loop BB10_75 Depth 2
                                        ;     Child Loop BB10_83 Depth 2
                                        ;     Child Loop BB10_91 Depth 2
                                        ;     Child Loop BB10_99 Depth 2
                                        ;     Child Loop BB10_108 Depth 2
                                        ;     Child Loop BB10_113 Depth 2
	v_cmp_lt_u64_e64 s[0:1], s[4:5], 56
	v_cmp_gt_u64_e64 s[10:11], s[4:5], 7
	s_and_b64 s[0:1], s[0:1], exec
	s_cselect_b32 s9, s5, 0
	s_cselect_b32 s8, s4, 56
	s_add_u32 s0, s6, 8
	s_addc_u32 s1, s7, 0
	s_and_b64 vcc, exec, s[10:11]
	s_cbranch_vccnz .LBB10_36
; %bb.33:                               ;   in Loop: Header=BB10_32 Depth=1
	s_cmp_eq_u64 s[4:5], 0
	s_cbranch_scc1 .LBB10_37
; %bb.34:                               ;   in Loop: Header=BB10_32 Depth=1
	s_waitcnt vmcnt(0)
	v_mov_b32_e32 v8, 0
	s_lshl_b64 s[0:1], s[8:9], 3
	s_mov_b64 s[10:11], 0
	v_mov_b32_e32 v9, 0
	s_mov_b64 s[12:13], s[6:7]
.LBB10_35:                              ;   Parent Loop BB10_32 Depth=1
                                        ; =>  This Inner Loop Header: Depth=2
	global_load_ubyte v2, v26, s[12:13]
	s_waitcnt vmcnt(0)
	v_and_b32_e32 v25, 0xffff, v2
	v_lshlrev_b64 v[2:3], s10, v[25:26]
	s_add_u32 s10, s10, 8
	s_addc_u32 s11, s11, 0
	s_add_u32 s12, s12, 1
	s_addc_u32 s13, s13, 0
	v_or_b32_e32 v8, v2, v8
	s_cmp_lg_u32 s0, s10
	v_or_b32_e32 v9, v3, v9
	s_cbranch_scc1 .LBB10_35
	s_branch .LBB10_38
.LBB10_36:                              ;   in Loop: Header=BB10_32 Depth=1
	s_mov_b32 s14, 0
	s_branch .LBB10_39
.LBB10_37:                              ;   in Loop: Header=BB10_32 Depth=1
	s_waitcnt vmcnt(0)
	v_mov_b32_e32 v8, 0
	v_mov_b32_e32 v9, 0
.LBB10_38:                              ;   in Loop: Header=BB10_32 Depth=1
	s_mov_b64 s[0:1], s[6:7]
	s_mov_b32 s14, 0
	s_cbranch_execnz .LBB10_40
.LBB10_39:                              ;   in Loop: Header=BB10_32 Depth=1
	global_load_dwordx2 v[8:9], v26, s[6:7]
	s_add_i32 s14, s8, -8
.LBB10_40:                              ;   in Loop: Header=BB10_32 Depth=1
	s_add_u32 s10, s0, 8
	s_addc_u32 s11, s1, 0
	s_cmp_gt_u32 s14, 7
	s_cbranch_scc1 .LBB10_44
; %bb.41:                               ;   in Loop: Header=BB10_32 Depth=1
	s_cmp_eq_u32 s14, 0
	s_cbranch_scc1 .LBB10_45
; %bb.42:                               ;   in Loop: Header=BB10_32 Depth=1
	v_mov_b32_e32 v10, 0
	s_mov_b64 s[10:11], 0
	v_mov_b32_e32 v11, 0
	s_mov_b64 s[12:13], 0
.LBB10_43:                              ;   Parent Loop BB10_32 Depth=1
                                        ; =>  This Inner Loop Header: Depth=2
	s_add_u32 s16, s0, s12
	s_addc_u32 s17, s1, s13
	global_load_ubyte v2, v26, s[16:17]
	s_add_u32 s12, s12, 1
	s_addc_u32 s13, s13, 0
	s_waitcnt vmcnt(0)
	v_and_b32_e32 v25, 0xffff, v2
	v_lshlrev_b64 v[2:3], s10, v[25:26]
	s_add_u32 s10, s10, 8
	s_addc_u32 s11, s11, 0
	v_or_b32_e32 v10, v2, v10
	s_cmp_lg_u32 s14, s12
	v_or_b32_e32 v11, v3, v11
	s_cbranch_scc1 .LBB10_43
	s_branch .LBB10_46
.LBB10_44:                              ;   in Loop: Header=BB10_32 Depth=1
                                        ; implicit-def: $vgpr10_vgpr11
	s_mov_b32 s15, 0
	s_branch .LBB10_47
.LBB10_45:                              ;   in Loop: Header=BB10_32 Depth=1
	v_mov_b32_e32 v10, 0
	v_mov_b32_e32 v11, 0
.LBB10_46:                              ;   in Loop: Header=BB10_32 Depth=1
	s_mov_b64 s[10:11], s[0:1]
	s_mov_b32 s15, 0
	s_cbranch_execnz .LBB10_48
.LBB10_47:                              ;   in Loop: Header=BB10_32 Depth=1
	global_load_dwordx2 v[10:11], v26, s[0:1]
	s_add_i32 s15, s14, -8
.LBB10_48:                              ;   in Loop: Header=BB10_32 Depth=1
	s_add_u32 s0, s10, 8
	s_addc_u32 s1, s11, 0
	s_cmp_gt_u32 s15, 7
	s_cbranch_scc1 .LBB10_52
; %bb.49:                               ;   in Loop: Header=BB10_32 Depth=1
	s_cmp_eq_u32 s15, 0
	s_cbranch_scc1 .LBB10_53
; %bb.50:                               ;   in Loop: Header=BB10_32 Depth=1
	v_mov_b32_e32 v12, 0
	s_mov_b64 s[0:1], 0
	v_mov_b32_e32 v13, 0
	s_mov_b64 s[12:13], 0
.LBB10_51:                              ;   Parent Loop BB10_32 Depth=1
                                        ; =>  This Inner Loop Header: Depth=2
	s_add_u32 s16, s10, s12
	s_addc_u32 s17, s11, s13
	global_load_ubyte v2, v26, s[16:17]
	s_add_u32 s12, s12, 1
	s_addc_u32 s13, s13, 0
	s_waitcnt vmcnt(0)
	v_and_b32_e32 v25, 0xffff, v2
	v_lshlrev_b64 v[2:3], s0, v[25:26]
	s_add_u32 s0, s0, 8
	s_addc_u32 s1, s1, 0
	v_or_b32_e32 v12, v2, v12
	s_cmp_lg_u32 s15, s12
	v_or_b32_e32 v13, v3, v13
	s_cbranch_scc1 .LBB10_51
	s_branch .LBB10_54
.LBB10_52:                              ;   in Loop: Header=BB10_32 Depth=1
	s_mov_b32 s14, 0
	s_branch .LBB10_55
.LBB10_53:                              ;   in Loop: Header=BB10_32 Depth=1
	v_mov_b32_e32 v12, 0
	v_mov_b32_e32 v13, 0
.LBB10_54:                              ;   in Loop: Header=BB10_32 Depth=1
	s_mov_b64 s[0:1], s[10:11]
	s_mov_b32 s14, 0
	s_cbranch_execnz .LBB10_56
.LBB10_55:                              ;   in Loop: Header=BB10_32 Depth=1
	global_load_dwordx2 v[12:13], v26, s[10:11]
	s_add_i32 s14, s15, -8
.LBB10_56:                              ;   in Loop: Header=BB10_32 Depth=1
	s_add_u32 s10, s0, 8
	s_addc_u32 s11, s1, 0
	s_cmp_gt_u32 s14, 7
	s_cbranch_scc1 .LBB10_60
; %bb.57:                               ;   in Loop: Header=BB10_32 Depth=1
	s_cmp_eq_u32 s14, 0
	s_cbranch_scc1 .LBB10_61
; %bb.58:                               ;   in Loop: Header=BB10_32 Depth=1
	v_mov_b32_e32 v14, 0
	s_mov_b64 s[10:11], 0
	v_mov_b32_e32 v15, 0
	s_mov_b64 s[12:13], 0
.LBB10_59:                              ;   Parent Loop BB10_32 Depth=1
                                        ; =>  This Inner Loop Header: Depth=2
	s_add_u32 s16, s0, s12
	s_addc_u32 s17, s1, s13
	global_load_ubyte v2, v26, s[16:17]
	s_add_u32 s12, s12, 1
	s_addc_u32 s13, s13, 0
	s_waitcnt vmcnt(0)
	v_and_b32_e32 v25, 0xffff, v2
	v_lshlrev_b64 v[2:3], s10, v[25:26]
	s_add_u32 s10, s10, 8
	s_addc_u32 s11, s11, 0
	v_or_b32_e32 v14, v2, v14
	s_cmp_lg_u32 s14, s12
	v_or_b32_e32 v15, v3, v15
	s_cbranch_scc1 .LBB10_59
	s_branch .LBB10_62
.LBB10_60:                              ;   in Loop: Header=BB10_32 Depth=1
                                        ; implicit-def: $vgpr14_vgpr15
	s_mov_b32 s15, 0
	s_branch .LBB10_63
.LBB10_61:                              ;   in Loop: Header=BB10_32 Depth=1
	v_mov_b32_e32 v14, 0
	v_mov_b32_e32 v15, 0
.LBB10_62:                              ;   in Loop: Header=BB10_32 Depth=1
	s_mov_b64 s[10:11], s[0:1]
	s_mov_b32 s15, 0
	s_cbranch_execnz .LBB10_64
.LBB10_63:                              ;   in Loop: Header=BB10_32 Depth=1
	global_load_dwordx2 v[14:15], v26, s[0:1]
	s_add_i32 s15, s14, -8
.LBB10_64:                              ;   in Loop: Header=BB10_32 Depth=1
	s_add_u32 s0, s10, 8
	s_addc_u32 s1, s11, 0
	s_cmp_gt_u32 s15, 7
	s_cbranch_scc1 .LBB10_68
; %bb.65:                               ;   in Loop: Header=BB10_32 Depth=1
	s_cmp_eq_u32 s15, 0
	s_cbranch_scc1 .LBB10_69
; %bb.66:                               ;   in Loop: Header=BB10_32 Depth=1
	v_mov_b32_e32 v16, 0
	s_mov_b64 s[0:1], 0
	v_mov_b32_e32 v17, 0
	s_mov_b64 s[12:13], 0
.LBB10_67:                              ;   Parent Loop BB10_32 Depth=1
                                        ; =>  This Inner Loop Header: Depth=2
	s_add_u32 s16, s10, s12
	s_addc_u32 s17, s11, s13
	global_load_ubyte v2, v26, s[16:17]
	s_add_u32 s12, s12, 1
	s_addc_u32 s13, s13, 0
	s_waitcnt vmcnt(0)
	v_and_b32_e32 v25, 0xffff, v2
	v_lshlrev_b64 v[2:3], s0, v[25:26]
	s_add_u32 s0, s0, 8
	s_addc_u32 s1, s1, 0
	v_or_b32_e32 v16, v2, v16
	s_cmp_lg_u32 s15, s12
	v_or_b32_e32 v17, v3, v17
	s_cbranch_scc1 .LBB10_67
	s_branch .LBB10_70
.LBB10_68:                              ;   in Loop: Header=BB10_32 Depth=1
	s_mov_b32 s14, 0
	s_branch .LBB10_71
.LBB10_69:                              ;   in Loop: Header=BB10_32 Depth=1
	v_mov_b32_e32 v16, 0
	v_mov_b32_e32 v17, 0
.LBB10_70:                              ;   in Loop: Header=BB10_32 Depth=1
	s_mov_b64 s[0:1], s[10:11]
	s_mov_b32 s14, 0
	s_cbranch_execnz .LBB10_72
.LBB10_71:                              ;   in Loop: Header=BB10_32 Depth=1
	global_load_dwordx2 v[16:17], v26, s[10:11]
	s_add_i32 s14, s15, -8
.LBB10_72:                              ;   in Loop: Header=BB10_32 Depth=1
	s_add_u32 s10, s0, 8
	s_addc_u32 s11, s1, 0
	s_cmp_gt_u32 s14, 7
	s_cbranch_scc1 .LBB10_76
; %bb.73:                               ;   in Loop: Header=BB10_32 Depth=1
	s_cmp_eq_u32 s14, 0
	s_cbranch_scc1 .LBB10_77
; %bb.74:                               ;   in Loop: Header=BB10_32 Depth=1
	v_mov_b32_e32 v18, 0
	s_mov_b64 s[10:11], 0
	v_mov_b32_e32 v19, 0
	s_mov_b64 s[12:13], 0
.LBB10_75:                              ;   Parent Loop BB10_32 Depth=1
                                        ; =>  This Inner Loop Header: Depth=2
	s_add_u32 s16, s0, s12
	s_addc_u32 s17, s1, s13
	global_load_ubyte v2, v26, s[16:17]
	s_add_u32 s12, s12, 1
	s_addc_u32 s13, s13, 0
	s_waitcnt vmcnt(0)
	v_and_b32_e32 v25, 0xffff, v2
	v_lshlrev_b64 v[2:3], s10, v[25:26]
	s_add_u32 s10, s10, 8
	s_addc_u32 s11, s11, 0
	v_or_b32_e32 v18, v2, v18
	s_cmp_lg_u32 s14, s12
	v_or_b32_e32 v19, v3, v19
	s_cbranch_scc1 .LBB10_75
	s_branch .LBB10_78
.LBB10_76:                              ;   in Loop: Header=BB10_32 Depth=1
                                        ; implicit-def: $vgpr18_vgpr19
	s_mov_b32 s15, 0
	s_branch .LBB10_79
.LBB10_77:                              ;   in Loop: Header=BB10_32 Depth=1
	v_mov_b32_e32 v18, 0
	v_mov_b32_e32 v19, 0
.LBB10_78:                              ;   in Loop: Header=BB10_32 Depth=1
	s_mov_b64 s[10:11], s[0:1]
	s_mov_b32 s15, 0
	s_cbranch_execnz .LBB10_80
.LBB10_79:                              ;   in Loop: Header=BB10_32 Depth=1
	global_load_dwordx2 v[18:19], v26, s[0:1]
	s_add_i32 s15, s14, -8
.LBB10_80:                              ;   in Loop: Header=BB10_32 Depth=1
	s_cmp_gt_u32 s15, 7
	s_cbranch_scc1 .LBB10_84
; %bb.81:                               ;   in Loop: Header=BB10_32 Depth=1
	s_cmp_eq_u32 s15, 0
	s_cbranch_scc1 .LBB10_85
; %bb.82:                               ;   in Loop: Header=BB10_32 Depth=1
	v_mov_b32_e32 v20, 0
	s_mov_b64 s[0:1], 0
	v_mov_b32_e32 v21, 0
	s_mov_b64 s[12:13], s[10:11]
.LBB10_83:                              ;   Parent Loop BB10_32 Depth=1
                                        ; =>  This Inner Loop Header: Depth=2
	global_load_ubyte v2, v26, s[12:13]
	s_add_i32 s15, s15, -1
	s_waitcnt vmcnt(0)
	v_and_b32_e32 v25, 0xffff, v2
	v_lshlrev_b64 v[2:3], s0, v[25:26]
	s_add_u32 s0, s0, 8
	s_addc_u32 s1, s1, 0
	s_add_u32 s12, s12, 1
	s_addc_u32 s13, s13, 0
	v_or_b32_e32 v20, v2, v20
	s_cmp_lg_u32 s15, 0
	v_or_b32_e32 v21, v3, v21
	s_cbranch_scc1 .LBB10_83
	s_branch .LBB10_86
.LBB10_84:                              ;   in Loop: Header=BB10_32 Depth=1
	s_branch .LBB10_87
.LBB10_85:                              ;   in Loop: Header=BB10_32 Depth=1
	v_mov_b32_e32 v20, 0
	v_mov_b32_e32 v21, 0
.LBB10_86:                              ;   in Loop: Header=BB10_32 Depth=1
	s_cbranch_execnz .LBB10_88
.LBB10_87:                              ;   in Loop: Header=BB10_32 Depth=1
	global_load_dwordx2 v[20:21], v26, s[10:11]
.LBB10_88:                              ;   in Loop: Header=BB10_32 Depth=1
	v_readfirstlane_b32 s0, v30
	v_mov_b32_e32 v2, 0
	v_mov_b32_e32 v3, 0
	v_cmp_eq_u32_e64 s[0:1], s0, v30
	s_and_saveexec_b64 s[10:11], s[0:1]
	s_cbranch_execz .LBB10_94
; %bb.89:                               ;   in Loop: Header=BB10_32 Depth=1
	global_load_dwordx2 v[24:25], v26, s[2:3] offset:24 glc
	s_waitcnt vmcnt(0)
	buffer_wbinvl1_vol
	global_load_dwordx2 v[2:3], v26, s[2:3] offset:40
	global_load_dwordx2 v[22:23], v26, s[2:3]
	s_waitcnt vmcnt(1)
	v_and_b32_e32 v2, v2, v24
	v_and_b32_e32 v3, v3, v25
	v_mul_lo_u32 v3, v3, 24
	v_mul_hi_u32 v27, v2, 24
	v_mul_lo_u32 v2, v2, 24
	v_add_u32_e32 v3, v27, v3
	s_waitcnt vmcnt(0)
	v_add_co_u32_e32 v2, vcc, v22, v2
	v_addc_co_u32_e32 v3, vcc, v23, v3, vcc
	global_load_dwordx2 v[22:23], v[2:3], off glc
	s_waitcnt vmcnt(0)
	global_atomic_cmpswap_x2 v[2:3], v26, v[22:25], s[2:3] offset:24 glc
	s_waitcnt vmcnt(0)
	buffer_wbinvl1_vol
	v_cmp_ne_u64_e32 vcc, v[2:3], v[24:25]
	s_and_saveexec_b64 s[12:13], vcc
	s_cbranch_execz .LBB10_93
; %bb.90:                               ;   in Loop: Header=BB10_32 Depth=1
	s_mov_b64 s[14:15], 0
.LBB10_91:                              ;   Parent Loop BB10_32 Depth=1
                                        ; =>  This Inner Loop Header: Depth=2
	s_sleep 1
	global_load_dwordx2 v[22:23], v26, s[2:3] offset:40
	global_load_dwordx2 v[27:28], v26, s[2:3]
	v_mov_b32_e32 v25, v3
	v_mov_b32_e32 v24, v2
	s_waitcnt vmcnt(1)
	v_and_b32_e32 v2, v22, v24
	s_waitcnt vmcnt(0)
	v_mad_u64_u32 v[2:3], s[16:17], v2, 24, v[27:28]
	v_and_b32_e32 v22, v23, v25
	v_mad_u64_u32 v[22:23], s[16:17], v22, 24, v[3:4]
	v_mov_b32_e32 v3, v22
	global_load_dwordx2 v[22:23], v[2:3], off glc
	s_waitcnt vmcnt(0)
	global_atomic_cmpswap_x2 v[2:3], v26, v[22:25], s[2:3] offset:24 glc
	s_waitcnt vmcnt(0)
	buffer_wbinvl1_vol
	v_cmp_eq_u64_e32 vcc, v[2:3], v[24:25]
	s_or_b64 s[14:15], vcc, s[14:15]
	s_andn2_b64 exec, exec, s[14:15]
	s_cbranch_execnz .LBB10_91
; %bb.92:                               ;   in Loop: Header=BB10_32 Depth=1
	s_or_b64 exec, exec, s[14:15]
.LBB10_93:                              ;   in Loop: Header=BB10_32 Depth=1
	s_or_b64 exec, exec, s[12:13]
.LBB10_94:                              ;   in Loop: Header=BB10_32 Depth=1
	s_or_b64 exec, exec, s[10:11]
	global_load_dwordx2 v[27:28], v26, s[2:3] offset:40
	global_load_dwordx4 v[22:25], v26, s[2:3]
	v_readfirstlane_b32 s11, v3
	v_readfirstlane_b32 s10, v2
	s_mov_b64 s[12:13], exec
	s_waitcnt vmcnt(1)
	v_readfirstlane_b32 s14, v27
	v_readfirstlane_b32 s15, v28
	s_and_b64 s[14:15], s[14:15], s[10:11]
	s_mul_i32 s16, s15, 24
	s_mul_hi_u32 s17, s14, 24
	s_mul_i32 s18, s14, 24
	s_add_i32 s16, s17, s16
	v_mov_b32_e32 v2, s16
	s_waitcnt vmcnt(0)
	v_add_co_u32_e32 v27, vcc, s18, v22
	v_addc_co_u32_e32 v28, vcc, v23, v2, vcc
	s_and_saveexec_b64 s[16:17], s[0:1]
	s_cbranch_execz .LBB10_96
; %bb.95:                               ;   in Loop: Header=BB10_32 Depth=1
	v_mov_b32_e32 v2, s12
	v_mov_b32_e32 v3, s13
	global_store_dwordx4 v[27:28], v[2:5], off offset:8
.LBB10_96:                              ;   in Loop: Header=BB10_32 Depth=1
	s_or_b64 exec, exec, s[16:17]
	s_lshl_b64 s[12:13], s[14:15], 12
	v_cmp_gt_u64_e64 s[14:15], s[4:5], 56
	v_mov_b32_e32 v2, s13
	v_add_co_u32_e32 v24, vcc, s12, v24
	s_and_b64 s[12:13], s[14:15], exec
	s_cselect_b32 s12, 0, 2
	s_lshl_b32 s13, s8, 2
	v_addc_co_u32_e32 v31, vcc, v25, v2, vcc
	s_add_i32 s13, s13, 28
	v_and_b32_e32 v2, 0xffffff1f, v6
	s_and_b32 s13, s13, 0x1e0
	v_or_b32_e32 v2, s12, v2
	v_or_b32_e32 v6, s13, v2
	v_readfirstlane_b32 s12, v24
	v_readfirstlane_b32 s13, v31
	s_nop 4
	global_store_dwordx4 v29, v[6:9], s[12:13]
	global_store_dwordx4 v29, v[10:13], s[12:13] offset:16
	global_store_dwordx4 v29, v[14:17], s[12:13] offset:32
	;; [unrolled: 1-line block ×3, first 2 shown]
	s_and_saveexec_b64 s[12:13], s[0:1]
	s_cbranch_execz .LBB10_104
; %bb.97:                               ;   in Loop: Header=BB10_32 Depth=1
	global_load_dwordx2 v[10:11], v26, s[2:3] offset:32 glc
	global_load_dwordx2 v[2:3], v26, s[2:3] offset:40
	v_mov_b32_e32 v8, s10
	v_mov_b32_e32 v9, s11
	s_waitcnt vmcnt(0)
	v_readfirstlane_b32 s14, v2
	v_readfirstlane_b32 s15, v3
	s_and_b64 s[14:15], s[14:15], s[10:11]
	s_mul_i32 s15, s15, 24
	s_mul_hi_u32 s16, s14, 24
	s_mul_i32 s14, s14, 24
	s_add_i32 s15, s16, s15
	v_mov_b32_e32 v3, s15
	v_add_co_u32_e32 v2, vcc, s14, v22
	v_addc_co_u32_e32 v3, vcc, v23, v3, vcc
	global_store_dwordx2 v[2:3], v[10:11], off
	s_waitcnt vmcnt(0)
	global_atomic_cmpswap_x2 v[8:9], v26, v[8:11], s[2:3] offset:32 glc
	s_waitcnt vmcnt(0)
	v_cmp_ne_u64_e32 vcc, v[8:9], v[10:11]
	s_and_saveexec_b64 s[14:15], vcc
	s_cbranch_execz .LBB10_100
; %bb.98:                               ;   in Loop: Header=BB10_32 Depth=1
	s_mov_b64 s[16:17], 0
.LBB10_99:                              ;   Parent Loop BB10_32 Depth=1
                                        ; =>  This Inner Loop Header: Depth=2
	s_sleep 1
	global_store_dwordx2 v[2:3], v[8:9], off
	v_mov_b32_e32 v6, s10
	v_mov_b32_e32 v7, s11
	s_waitcnt vmcnt(0)
	global_atomic_cmpswap_x2 v[6:7], v26, v[6:9], s[2:3] offset:32 glc
	s_waitcnt vmcnt(0)
	v_cmp_eq_u64_e32 vcc, v[6:7], v[8:9]
	v_mov_b32_e32 v9, v7
	s_or_b64 s[16:17], vcc, s[16:17]
	v_mov_b32_e32 v8, v6
	s_andn2_b64 exec, exec, s[16:17]
	s_cbranch_execnz .LBB10_99
.LBB10_100:                             ;   in Loop: Header=BB10_32 Depth=1
	s_or_b64 exec, exec, s[14:15]
	global_load_dwordx2 v[2:3], v26, s[2:3] offset:16
	s_mov_b64 s[16:17], exec
	v_mbcnt_lo_u32_b32 v6, s16, 0
	v_mbcnt_hi_u32_b32 v6, s17, v6
	v_cmp_eq_u32_e32 vcc, 0, v6
	s_and_saveexec_b64 s[14:15], vcc
	s_cbranch_execz .LBB10_102
; %bb.101:                              ;   in Loop: Header=BB10_32 Depth=1
	s_bcnt1_i32_b64 s16, s[16:17]
	v_mov_b32_e32 v25, s16
	s_waitcnt vmcnt(0)
	global_atomic_add_x2 v[2:3], v[25:26], off offset:8
.LBB10_102:                             ;   in Loop: Header=BB10_32 Depth=1
	s_or_b64 exec, exec, s[14:15]
	s_waitcnt vmcnt(0)
	global_load_dwordx2 v[6:7], v[2:3], off offset:16
	s_waitcnt vmcnt(0)
	v_cmp_eq_u64_e32 vcc, 0, v[6:7]
	s_cbranch_vccnz .LBB10_104
; %bb.103:                              ;   in Loop: Header=BB10_32 Depth=1
	global_load_dword v25, v[2:3], off offset:24
	s_waitcnt vmcnt(0)
	v_readfirstlane_b32 s14, v25
	s_and_b32 m0, s14, 0xffffff
	global_store_dwordx2 v[6:7], v[25:26], off
	s_sendmsg sendmsg(MSG_INTERRUPT)
.LBB10_104:                             ;   in Loop: Header=BB10_32 Depth=1
	s_or_b64 exec, exec, s[12:13]
	v_add_co_u32_e32 v2, vcc, v24, v29
	v_addc_co_u32_e32 v3, vcc, 0, v31, vcc
	s_branch .LBB10_108
.LBB10_105:                             ;   in Loop: Header=BB10_108 Depth=2
	s_or_b64 exec, exec, s[12:13]
	v_readfirstlane_b32 s12, v6
	s_cmp_eq_u32 s12, 0
	s_cbranch_scc1 .LBB10_107
; %bb.106:                              ;   in Loop: Header=BB10_108 Depth=2
	s_sleep 1
	s_cbranch_execnz .LBB10_108
	s_branch .LBB10_110
.LBB10_107:                             ;   in Loop: Header=BB10_32 Depth=1
	s_branch .LBB10_110
.LBB10_108:                             ;   Parent Loop BB10_32 Depth=1
                                        ; =>  This Inner Loop Header: Depth=2
	v_mov_b32_e32 v6, 1
	s_and_saveexec_b64 s[12:13], s[0:1]
	s_cbranch_execz .LBB10_105
; %bb.109:                              ;   in Loop: Header=BB10_108 Depth=2
	global_load_dword v6, v[27:28], off offset:20 glc
	s_waitcnt vmcnt(0)
	buffer_wbinvl1_vol
	v_and_b32_e32 v6, 1, v6
	s_branch .LBB10_105
.LBB10_110:                             ;   in Loop: Header=BB10_32 Depth=1
	global_load_dwordx4 v[6:9], v[2:3], off
	s_and_saveexec_b64 s[12:13], s[0:1]
	s_cbranch_execz .LBB10_31
; %bb.111:                              ;   in Loop: Header=BB10_32 Depth=1
	global_load_dwordx2 v[2:3], v26, s[2:3] offset:40
	global_load_dwordx2 v[12:13], v26, s[2:3] offset:24 glc
	global_load_dwordx2 v[8:9], v26, s[2:3]
	s_waitcnt vmcnt(2)
	v_readfirstlane_b32 s14, v2
	v_readfirstlane_b32 s15, v3
	s_add_u32 s16, s14, 1
	s_addc_u32 s17, s15, 0
	s_add_u32 s0, s16, s10
	s_addc_u32 s1, s17, s11
	s_cmp_eq_u64 s[0:1], 0
	s_cselect_b32 s1, s17, s1
	s_cselect_b32 s0, s16, s0
	s_and_b64 s[10:11], s[0:1], s[14:15]
	s_mul_i32 s11, s11, 24
	s_mul_hi_u32 s14, s10, 24
	s_mul_i32 s10, s10, 24
	s_add_i32 s11, s14, s11
	v_mov_b32_e32 v3, s11
	s_waitcnt vmcnt(0)
	v_add_co_u32_e32 v2, vcc, s10, v8
	v_addc_co_u32_e32 v3, vcc, v9, v3, vcc
	v_mov_b32_e32 v10, s0
	global_store_dwordx2 v[2:3], v[12:13], off
	v_mov_b32_e32 v11, s1
	s_waitcnt vmcnt(0)
	global_atomic_cmpswap_x2 v[10:11], v26, v[10:13], s[2:3] offset:24 glc
	s_waitcnt vmcnt(0)
	v_cmp_ne_u64_e32 vcc, v[10:11], v[12:13]
	s_and_b64 exec, exec, vcc
	s_cbranch_execz .LBB10_31
; %bb.112:                              ;   in Loop: Header=BB10_32 Depth=1
	s_mov_b64 s[10:11], 0
.LBB10_113:                             ;   Parent Loop BB10_32 Depth=1
                                        ; =>  This Inner Loop Header: Depth=2
	s_sleep 1
	global_store_dwordx2 v[2:3], v[10:11], off
	v_mov_b32_e32 v8, s0
	v_mov_b32_e32 v9, s1
	s_waitcnt vmcnt(0)
	global_atomic_cmpswap_x2 v[8:9], v26, v[8:11], s[2:3] offset:24 glc
	s_waitcnt vmcnt(0)
	v_cmp_eq_u64_e32 vcc, v[8:9], v[10:11]
	v_mov_b32_e32 v11, v9
	s_or_b64 s[10:11], vcc, s[10:11]
	v_mov_b32_e32 v10, v8
	s_andn2_b64 exec, exec, s[10:11]
	s_cbranch_execnz .LBB10_113
	s_branch .LBB10_31
.LBB10_114:
	s_branch .LBB10_141
.LBB10_115:
	s_cbranch_execz .LBB10_141
; %bb.116:
	v_readfirstlane_b32 s0, v30
	s_waitcnt vmcnt(0)
	v_mov_b32_e32 v8, 0
	v_mov_b32_e32 v9, 0
	v_cmp_eq_u32_e64 s[0:1], s0, v30
	s_and_saveexec_b64 s[4:5], s[0:1]
	s_cbranch_execz .LBB10_122
; %bb.117:
	v_mov_b32_e32 v2, 0
	global_load_dwordx2 v[5:6], v2, s[2:3] offset:24 glc
	s_waitcnt vmcnt(0)
	buffer_wbinvl1_vol
	global_load_dwordx2 v[3:4], v2, s[2:3] offset:40
	global_load_dwordx2 v[7:8], v2, s[2:3]
	s_waitcnt vmcnt(1)
	v_and_b32_e32 v3, v3, v5
	v_and_b32_e32 v4, v4, v6
	v_mul_lo_u32 v4, v4, 24
	v_mul_hi_u32 v9, v3, 24
	v_mul_lo_u32 v3, v3, 24
	v_add_u32_e32 v4, v9, v4
	s_waitcnt vmcnt(0)
	v_add_co_u32_e32 v3, vcc, v7, v3
	v_addc_co_u32_e32 v4, vcc, v8, v4, vcc
	global_load_dwordx2 v[3:4], v[3:4], off glc
	s_waitcnt vmcnt(0)
	global_atomic_cmpswap_x2 v[8:9], v2, v[3:6], s[2:3] offset:24 glc
	s_waitcnt vmcnt(0)
	buffer_wbinvl1_vol
	v_cmp_ne_u64_e32 vcc, v[8:9], v[5:6]
	s_and_saveexec_b64 s[6:7], vcc
	s_cbranch_execz .LBB10_121
; %bb.118:
	s_mov_b64 s[8:9], 0
.LBB10_119:                             ; =>This Inner Loop Header: Depth=1
	s_sleep 1
	global_load_dwordx2 v[3:4], v2, s[2:3] offset:40
	global_load_dwordx2 v[10:11], v2, s[2:3]
	v_mov_b32_e32 v5, v8
	v_mov_b32_e32 v6, v9
	s_waitcnt vmcnt(1)
	v_and_b32_e32 v3, v3, v5
	s_waitcnt vmcnt(0)
	v_mad_u64_u32 v[7:8], s[10:11], v3, 24, v[10:11]
	v_and_b32_e32 v4, v4, v6
	v_mov_b32_e32 v3, v8
	v_mad_u64_u32 v[3:4], s[10:11], v4, 24, v[3:4]
	v_mov_b32_e32 v8, v3
	global_load_dwordx2 v[3:4], v[7:8], off glc
	s_waitcnt vmcnt(0)
	global_atomic_cmpswap_x2 v[8:9], v2, v[3:6], s[2:3] offset:24 glc
	s_waitcnt vmcnt(0)
	buffer_wbinvl1_vol
	v_cmp_eq_u64_e32 vcc, v[8:9], v[5:6]
	s_or_b64 s[8:9], vcc, s[8:9]
	s_andn2_b64 exec, exec, s[8:9]
	s_cbranch_execnz .LBB10_119
; %bb.120:
	s_or_b64 exec, exec, s[8:9]
.LBB10_121:
	s_or_b64 exec, exec, s[6:7]
.LBB10_122:
	s_or_b64 exec, exec, s[4:5]
	v_mov_b32_e32 v2, 0
	global_load_dwordx2 v[10:11], v2, s[2:3] offset:40
	global_load_dwordx4 v[4:7], v2, s[2:3]
	v_readfirstlane_b32 s5, v9
	v_readfirstlane_b32 s4, v8
	s_mov_b64 s[6:7], exec
	s_waitcnt vmcnt(1)
	v_readfirstlane_b32 s8, v10
	v_readfirstlane_b32 s9, v11
	s_and_b64 s[8:9], s[8:9], s[4:5]
	s_mul_i32 s10, s9, 24
	s_mul_hi_u32 s11, s8, 24
	s_mul_i32 s12, s8, 24
	s_add_i32 s10, s11, s10
	v_mov_b32_e32 v3, s10
	s_waitcnt vmcnt(0)
	v_add_co_u32_e32 v8, vcc, s12, v4
	v_addc_co_u32_e32 v9, vcc, v5, v3, vcc
	s_and_saveexec_b64 s[10:11], s[0:1]
	s_cbranch_execz .LBB10_124
; %bb.123:
	v_mov_b32_e32 v11, s7
	v_mov_b32_e32 v10, s6
	;; [unrolled: 1-line block ×4, first 2 shown]
	global_store_dwordx4 v[8:9], v[10:13], off offset:8
.LBB10_124:
	s_or_b64 exec, exec, s[10:11]
	s_lshl_b64 s[6:7], s[8:9], 12
	v_mov_b32_e32 v3, s7
	v_add_co_u32_e32 v6, vcc, s6, v6
	v_addc_co_u32_e32 v7, vcc, v7, v3, vcc
	s_movk_i32 s6, 0xff1d
	v_and_or_b32 v0, v0, s6, 34
	s_mov_b32 s8, 0
	v_mov_b32_e32 v3, v2
	v_readfirstlane_b32 s6, v6
	v_readfirstlane_b32 s7, v7
	s_mov_b32 s9, s8
	s_mov_b32 s10, s8
	s_mov_b32 s11, s8
	s_nop 1
	global_store_dwordx4 v29, v[0:3], s[6:7]
	s_nop 0
	v_mov_b32_e32 v0, s8
	v_mov_b32_e32 v1, s9
	;; [unrolled: 1-line block ×4, first 2 shown]
	global_store_dwordx4 v29, v[0:3], s[6:7] offset:16
	global_store_dwordx4 v29, v[0:3], s[6:7] offset:32
	;; [unrolled: 1-line block ×3, first 2 shown]
	s_and_saveexec_b64 s[6:7], s[0:1]
	s_cbranch_execz .LBB10_132
; %bb.125:
	v_mov_b32_e32 v6, 0
	global_load_dwordx2 v[12:13], v6, s[2:3] offset:32 glc
	global_load_dwordx2 v[0:1], v6, s[2:3] offset:40
	v_mov_b32_e32 v10, s4
	v_mov_b32_e32 v11, s5
	s_waitcnt vmcnt(0)
	v_readfirstlane_b32 s8, v0
	v_readfirstlane_b32 s9, v1
	s_and_b64 s[8:9], s[8:9], s[4:5]
	s_mul_i32 s9, s9, 24
	s_mul_hi_u32 s10, s8, 24
	s_mul_i32 s8, s8, 24
	s_add_i32 s9, s10, s9
	v_mov_b32_e32 v0, s9
	v_add_co_u32_e32 v4, vcc, s8, v4
	v_addc_co_u32_e32 v5, vcc, v5, v0, vcc
	global_store_dwordx2 v[4:5], v[12:13], off
	s_waitcnt vmcnt(0)
	global_atomic_cmpswap_x2 v[2:3], v6, v[10:13], s[2:3] offset:32 glc
	s_waitcnt vmcnt(0)
	v_cmp_ne_u64_e32 vcc, v[2:3], v[12:13]
	s_and_saveexec_b64 s[8:9], vcc
	s_cbranch_execz .LBB10_128
; %bb.126:
	s_mov_b64 s[10:11], 0
.LBB10_127:                             ; =>This Inner Loop Header: Depth=1
	s_sleep 1
	global_store_dwordx2 v[4:5], v[2:3], off
	v_mov_b32_e32 v0, s4
	v_mov_b32_e32 v1, s5
	s_waitcnt vmcnt(0)
	global_atomic_cmpswap_x2 v[0:1], v6, v[0:3], s[2:3] offset:32 glc
	s_waitcnt vmcnt(0)
	v_cmp_eq_u64_e32 vcc, v[0:1], v[2:3]
	v_mov_b32_e32 v3, v1
	s_or_b64 s[10:11], vcc, s[10:11]
	v_mov_b32_e32 v2, v0
	s_andn2_b64 exec, exec, s[10:11]
	s_cbranch_execnz .LBB10_127
.LBB10_128:
	s_or_b64 exec, exec, s[8:9]
	v_mov_b32_e32 v3, 0
	global_load_dwordx2 v[0:1], v3, s[2:3] offset:16
	s_mov_b64 s[8:9], exec
	v_mbcnt_lo_u32_b32 v2, s8, 0
	v_mbcnt_hi_u32_b32 v2, s9, v2
	v_cmp_eq_u32_e32 vcc, 0, v2
	s_and_saveexec_b64 s[10:11], vcc
	s_cbranch_execz .LBB10_130
; %bb.129:
	s_bcnt1_i32_b64 s8, s[8:9]
	v_mov_b32_e32 v2, s8
	s_waitcnt vmcnt(0)
	global_atomic_add_x2 v[0:1], v[2:3], off offset:8
.LBB10_130:
	s_or_b64 exec, exec, s[10:11]
	s_waitcnt vmcnt(0)
	global_load_dwordx2 v[2:3], v[0:1], off offset:16
	s_waitcnt vmcnt(0)
	v_cmp_eq_u64_e32 vcc, 0, v[2:3]
	s_cbranch_vccnz .LBB10_132
; %bb.131:
	global_load_dword v0, v[0:1], off offset:24
	v_mov_b32_e32 v1, 0
	s_waitcnt vmcnt(0)
	v_readfirstlane_b32 s8, v0
	s_and_b32 m0, s8, 0xffffff
	global_store_dwordx2 v[2:3], v[0:1], off
	s_sendmsg sendmsg(MSG_INTERRUPT)
.LBB10_132:
	s_or_b64 exec, exec, s[6:7]
	s_branch .LBB10_136
.LBB10_133:                             ;   in Loop: Header=BB10_136 Depth=1
	s_or_b64 exec, exec, s[6:7]
	v_readfirstlane_b32 s6, v0
	s_cmp_eq_u32 s6, 0
	s_cbranch_scc1 .LBB10_135
; %bb.134:                              ;   in Loop: Header=BB10_136 Depth=1
	s_sleep 1
	s_cbranch_execnz .LBB10_136
	s_branch .LBB10_138
.LBB10_135:
	s_branch .LBB10_138
.LBB10_136:                             ; =>This Inner Loop Header: Depth=1
	v_mov_b32_e32 v0, 1
	s_and_saveexec_b64 s[6:7], s[0:1]
	s_cbranch_execz .LBB10_133
; %bb.137:                              ;   in Loop: Header=BB10_136 Depth=1
	global_load_dword v0, v[8:9], off offset:20 glc
	s_waitcnt vmcnt(0)
	buffer_wbinvl1_vol
	v_and_b32_e32 v0, 1, v0
	s_branch .LBB10_133
.LBB10_138:
	s_and_saveexec_b64 s[6:7], s[0:1]
	s_cbranch_execz .LBB10_141
; %bb.139:
	v_mov_b32_e32 v6, 0
	global_load_dwordx2 v[0:1], v6, s[2:3] offset:40
	global_load_dwordx2 v[9:10], v6, s[2:3] offset:24 glc
	global_load_dwordx2 v[2:3], v6, s[2:3]
	s_waitcnt vmcnt(2)
	v_readfirstlane_b32 s6, v0
	v_readfirstlane_b32 s7, v1
	s_add_u32 s8, s6, 1
	s_addc_u32 s9, s7, 0
	s_add_u32 s0, s8, s4
	s_addc_u32 s1, s9, s5
	s_cmp_eq_u64 s[0:1], 0
	s_cselect_b32 s1, s9, s1
	s_cselect_b32 s0, s8, s0
	s_and_b64 s[4:5], s[0:1], s[6:7]
	s_mul_i32 s5, s5, 24
	s_mul_hi_u32 s6, s4, 24
	s_mul_i32 s4, s4, 24
	s_add_i32 s5, s6, s5
	v_mov_b32_e32 v0, s5
	s_waitcnt vmcnt(0)
	v_add_co_u32_e32 v4, vcc, s4, v2
	v_addc_co_u32_e32 v5, vcc, v3, v0, vcc
	v_mov_b32_e32 v7, s0
	global_store_dwordx2 v[4:5], v[9:10], off
	v_mov_b32_e32 v8, s1
	s_waitcnt vmcnt(0)
	global_atomic_cmpswap_x2 v[2:3], v6, v[7:10], s[2:3] offset:24 glc
	s_mov_b64 s[4:5], 0
	s_waitcnt vmcnt(0)
	v_cmp_ne_u64_e32 vcc, v[2:3], v[9:10]
	s_and_b64 exec, exec, vcc
	s_cbranch_execz .LBB10_141
.LBB10_140:                             ; =>This Inner Loop Header: Depth=1
	s_sleep 1
	global_store_dwordx2 v[4:5], v[2:3], off
	v_mov_b32_e32 v0, s0
	v_mov_b32_e32 v1, s1
	s_waitcnt vmcnt(0)
	global_atomic_cmpswap_x2 v[0:1], v6, v[0:3], s[2:3] offset:24 glc
	s_waitcnt vmcnt(0)
	v_cmp_eq_u64_e32 vcc, v[0:1], v[2:3]
	v_mov_b32_e32 v3, v1
	s_or_b64 s[4:5], vcc, s[4:5]
	v_mov_b32_e32 v2, v0
	s_andn2_b64 exec, exec, s[4:5]
	s_cbranch_execnz .LBB10_140
.LBB10_141:
	s_endpgm
	.section	.rodata,"a",@progbits
	.p2align	6, 0x0
	.amdhsa_kernel _ZN2at6native30tinygemm_m16n8k16_chunk_kernelINS0_10ALayout_RMILNS0_14KReductionTypeE0EEENS0_15BLayout_TC_int4ILi4ELi256EEES4_Li8ELi8EEEvPKvS8_S8_Pviiiiii
		.amdhsa_group_segment_fixed_size 0
		.amdhsa_private_segment_fixed_size 0
		.amdhsa_kernarg_size 312
		.amdhsa_user_sgpr_count 6
		.amdhsa_user_sgpr_private_segment_buffer 1
		.amdhsa_user_sgpr_dispatch_ptr 0
		.amdhsa_user_sgpr_queue_ptr 0
		.amdhsa_user_sgpr_kernarg_segment_ptr 1
		.amdhsa_user_sgpr_dispatch_id 0
		.amdhsa_user_sgpr_flat_scratch_init 0
		.amdhsa_user_sgpr_private_segment_size 0
		.amdhsa_uses_dynamic_stack 0
		.amdhsa_system_sgpr_private_segment_wavefront_offset 0
		.amdhsa_system_sgpr_workgroup_id_x 1
		.amdhsa_system_sgpr_workgroup_id_y 0
		.amdhsa_system_sgpr_workgroup_id_z 0
		.amdhsa_system_sgpr_workgroup_info 0
		.amdhsa_system_vgpr_workitem_id 0
		.amdhsa_next_free_vgpr 32
		.amdhsa_next_free_sgpr 19
		.amdhsa_reserve_vcc 1
		.amdhsa_reserve_flat_scratch 0
		.amdhsa_float_round_mode_32 0
		.amdhsa_float_round_mode_16_64 0
		.amdhsa_float_denorm_mode_32 3
		.amdhsa_float_denorm_mode_16_64 3
		.amdhsa_dx10_clamp 1
		.amdhsa_ieee_mode 1
		.amdhsa_fp16_overflow 0
		.amdhsa_exception_fp_ieee_invalid_op 0
		.amdhsa_exception_fp_denorm_src 0
		.amdhsa_exception_fp_ieee_div_zero 0
		.amdhsa_exception_fp_ieee_overflow 0
		.amdhsa_exception_fp_ieee_underflow 0
		.amdhsa_exception_fp_ieee_inexact 0
		.amdhsa_exception_int_div_zero 0
	.end_amdhsa_kernel
	.section	.text._ZN2at6native30tinygemm_m16n8k16_chunk_kernelINS0_10ALayout_RMILNS0_14KReductionTypeE0EEENS0_15BLayout_TC_int4ILi4ELi256EEES4_Li8ELi8EEEvPKvS8_S8_Pviiiiii,"axG",@progbits,_ZN2at6native30tinygemm_m16n8k16_chunk_kernelINS0_10ALayout_RMILNS0_14KReductionTypeE0EEENS0_15BLayout_TC_int4ILi4ELi256EEES4_Li8ELi8EEEvPKvS8_S8_Pviiiiii,comdat
.Lfunc_end10:
	.size	_ZN2at6native30tinygemm_m16n8k16_chunk_kernelINS0_10ALayout_RMILNS0_14KReductionTypeE0EEENS0_15BLayout_TC_int4ILi4ELi256EEES4_Li8ELi8EEEvPKvS8_S8_Pviiiiii, .Lfunc_end10-_ZN2at6native30tinygemm_m16n8k16_chunk_kernelINS0_10ALayout_RMILNS0_14KReductionTypeE0EEENS0_15BLayout_TC_int4ILi4ELi256EEES4_Li8ELi8EEEvPKvS8_S8_Pviiiiii
                                        ; -- End function
	.set _ZN2at6native30tinygemm_m16n8k16_chunk_kernelINS0_10ALayout_RMILNS0_14KReductionTypeE0EEENS0_15BLayout_TC_int4ILi4ELi256EEES4_Li8ELi8EEEvPKvS8_S8_Pviiiiii.num_vgpr, 32
	.set _ZN2at6native30tinygemm_m16n8k16_chunk_kernelINS0_10ALayout_RMILNS0_14KReductionTypeE0EEENS0_15BLayout_TC_int4ILi4ELi256EEES4_Li8ELi8EEEvPKvS8_S8_Pviiiiii.num_agpr, 0
	.set _ZN2at6native30tinygemm_m16n8k16_chunk_kernelINS0_10ALayout_RMILNS0_14KReductionTypeE0EEENS0_15BLayout_TC_int4ILi4ELi256EEES4_Li8ELi8EEEvPKvS8_S8_Pviiiiii.numbered_sgpr, 19
	.set _ZN2at6native30tinygemm_m16n8k16_chunk_kernelINS0_10ALayout_RMILNS0_14KReductionTypeE0EEENS0_15BLayout_TC_int4ILi4ELi256EEES4_Li8ELi8EEEvPKvS8_S8_Pviiiiii.num_named_barrier, 0
	.set _ZN2at6native30tinygemm_m16n8k16_chunk_kernelINS0_10ALayout_RMILNS0_14KReductionTypeE0EEENS0_15BLayout_TC_int4ILi4ELi256EEES4_Li8ELi8EEEvPKvS8_S8_Pviiiiii.private_seg_size, 0
	.set _ZN2at6native30tinygemm_m16n8k16_chunk_kernelINS0_10ALayout_RMILNS0_14KReductionTypeE0EEENS0_15BLayout_TC_int4ILi4ELi256EEES4_Li8ELi8EEEvPKvS8_S8_Pviiiiii.uses_vcc, 1
	.set _ZN2at6native30tinygemm_m16n8k16_chunk_kernelINS0_10ALayout_RMILNS0_14KReductionTypeE0EEENS0_15BLayout_TC_int4ILi4ELi256EEES4_Li8ELi8EEEvPKvS8_S8_Pviiiiii.uses_flat_scratch, 0
	.set _ZN2at6native30tinygemm_m16n8k16_chunk_kernelINS0_10ALayout_RMILNS0_14KReductionTypeE0EEENS0_15BLayout_TC_int4ILi4ELi256EEES4_Li8ELi8EEEvPKvS8_S8_Pviiiiii.has_dyn_sized_stack, 0
	.set _ZN2at6native30tinygemm_m16n8k16_chunk_kernelINS0_10ALayout_RMILNS0_14KReductionTypeE0EEENS0_15BLayout_TC_int4ILi4ELi256EEES4_Li8ELi8EEEvPKvS8_S8_Pviiiiii.has_recursion, 0
	.set _ZN2at6native30tinygemm_m16n8k16_chunk_kernelINS0_10ALayout_RMILNS0_14KReductionTypeE0EEENS0_15BLayout_TC_int4ILi4ELi256EEES4_Li8ELi8EEEvPKvS8_S8_Pviiiiii.has_indirect_call, 0
	.section	.AMDGPU.csdata,"",@progbits
; Kernel info:
; codeLenInByte = 4752
; TotalNumSgprs: 23
; NumVgprs: 32
; ScratchSize: 0
; MemoryBound: 0
; FloatMode: 240
; IeeeMode: 1
; LDSByteSize: 0 bytes/workgroup (compile time only)
; SGPRBlocks: 2
; VGPRBlocks: 7
; NumSGPRsForWavesPerEU: 23
; NumVGPRsForWavesPerEU: 32
; Occupancy: 8
; WaveLimiterHint : 1
; COMPUTE_PGM_RSRC2:SCRATCH_EN: 0
; COMPUTE_PGM_RSRC2:USER_SGPR: 6
; COMPUTE_PGM_RSRC2:TRAP_HANDLER: 0
; COMPUTE_PGM_RSRC2:TGID_X_EN: 1
; COMPUTE_PGM_RSRC2:TGID_Y_EN: 0
; COMPUTE_PGM_RSRC2:TGID_Z_EN: 0
; COMPUTE_PGM_RSRC2:TIDIG_COMP_CNT: 0
	.section	.text._ZN2at6native30tinygemm_m16n8k16_chunk_kernelINS0_10ALayout_RMILNS0_14KReductionTypeE0EEENS0_15BLayout_TC_int4ILi8ELi256EEES4_Li8ELi8EEEvPKvS8_S8_Pviiiiii,"axG",@progbits,_ZN2at6native30tinygemm_m16n8k16_chunk_kernelINS0_10ALayout_RMILNS0_14KReductionTypeE0EEENS0_15BLayout_TC_int4ILi8ELi256EEES4_Li8ELi8EEEvPKvS8_S8_Pviiiiii,comdat
	.protected	_ZN2at6native30tinygemm_m16n8k16_chunk_kernelINS0_10ALayout_RMILNS0_14KReductionTypeE0EEENS0_15BLayout_TC_int4ILi8ELi256EEES4_Li8ELi8EEEvPKvS8_S8_Pviiiiii ; -- Begin function _ZN2at6native30tinygemm_m16n8k16_chunk_kernelINS0_10ALayout_RMILNS0_14KReductionTypeE0EEENS0_15BLayout_TC_int4ILi8ELi256EEES4_Li8ELi8EEEvPKvS8_S8_Pviiiiii
	.globl	_ZN2at6native30tinygemm_m16n8k16_chunk_kernelINS0_10ALayout_RMILNS0_14KReductionTypeE0EEENS0_15BLayout_TC_int4ILi8ELi256EEES4_Li8ELi8EEEvPKvS8_S8_Pviiiiii
	.p2align	8
	.type	_ZN2at6native30tinygemm_m16n8k16_chunk_kernelINS0_10ALayout_RMILNS0_14KReductionTypeE0EEENS0_15BLayout_TC_int4ILi8ELi256EEES4_Li8ELi8EEEvPKvS8_S8_Pviiiiii,@function
_ZN2at6native30tinygemm_m16n8k16_chunk_kernelINS0_10ALayout_RMILNS0_14KReductionTypeE0EEENS0_15BLayout_TC_int4ILi8ELi256EEES4_Li8ELi8EEEvPKvS8_S8_Pviiiiii: ; @_ZN2at6native30tinygemm_m16n8k16_chunk_kernelINS0_10ALayout_RMILNS0_14KReductionTypeE0EEENS0_15BLayout_TC_int4ILi8ELi256EEES4_Li8ELi8EEEvPKvS8_S8_Pviiiiii
; %bb.0:
	s_load_dwordx2 s[2:3], s[4:5], 0x88
	v_mbcnt_lo_u32_b32 v0, -1, 0
	v_mbcnt_hi_u32_b32 v30, -1, v0
	v_readfirstlane_b32 s0, v30
	v_mov_b32_e32 v5, 0
	v_mov_b32_e32 v6, 0
	v_cmp_eq_u32_e64 s[0:1], s0, v30
	s_and_saveexec_b64 s[4:5], s[0:1]
	s_cbranch_execz .LBB11_6
; %bb.1:
	v_mov_b32_e32 v0, 0
	s_waitcnt lgkmcnt(0)
	global_load_dwordx2 v[3:4], v0, s[2:3] offset:24 glc
	s_waitcnt vmcnt(0)
	buffer_wbinvl1_vol
	global_load_dwordx2 v[1:2], v0, s[2:3] offset:40
	global_load_dwordx2 v[5:6], v0, s[2:3]
	s_waitcnt vmcnt(1)
	v_and_b32_e32 v1, v1, v3
	v_and_b32_e32 v2, v2, v4
	v_mul_lo_u32 v2, v2, 24
	v_mul_hi_u32 v7, v1, 24
	v_mul_lo_u32 v1, v1, 24
	v_add_u32_e32 v2, v7, v2
	s_waitcnt vmcnt(0)
	v_add_co_u32_e32 v1, vcc, v5, v1
	v_addc_co_u32_e32 v2, vcc, v6, v2, vcc
	global_load_dwordx2 v[1:2], v[1:2], off glc
	s_waitcnt vmcnt(0)
	global_atomic_cmpswap_x2 v[5:6], v0, v[1:4], s[2:3] offset:24 glc
	s_waitcnt vmcnt(0)
	buffer_wbinvl1_vol
	v_cmp_ne_u64_e32 vcc, v[5:6], v[3:4]
	s_and_saveexec_b64 s[6:7], vcc
	s_cbranch_execz .LBB11_5
; %bb.2:
	s_mov_b64 s[8:9], 0
.LBB11_3:                               ; =>This Inner Loop Header: Depth=1
	s_sleep 1
	global_load_dwordx2 v[1:2], v0, s[2:3] offset:40
	global_load_dwordx2 v[7:8], v0, s[2:3]
	v_mov_b32_e32 v3, v5
	v_mov_b32_e32 v4, v6
	s_waitcnt vmcnt(1)
	v_and_b32_e32 v1, v1, v3
	s_waitcnt vmcnt(0)
	v_mad_u64_u32 v[5:6], s[10:11], v1, 24, v[7:8]
	v_and_b32_e32 v2, v2, v4
	v_mov_b32_e32 v1, v6
	v_mad_u64_u32 v[1:2], s[10:11], v2, 24, v[1:2]
	v_mov_b32_e32 v6, v1
	global_load_dwordx2 v[1:2], v[5:6], off glc
	s_waitcnt vmcnt(0)
	global_atomic_cmpswap_x2 v[5:6], v0, v[1:4], s[2:3] offset:24 glc
	s_waitcnt vmcnt(0)
	buffer_wbinvl1_vol
	v_cmp_eq_u64_e32 vcc, v[5:6], v[3:4]
	s_or_b64 s[8:9], vcc, s[8:9]
	s_andn2_b64 exec, exec, s[8:9]
	s_cbranch_execnz .LBB11_3
; %bb.4:
	s_or_b64 exec, exec, s[8:9]
.LBB11_5:
	s_or_b64 exec, exec, s[6:7]
.LBB11_6:
	s_or_b64 exec, exec, s[4:5]
	v_mov_b32_e32 v4, 0
	s_waitcnt lgkmcnt(0)
	global_load_dwordx2 v[7:8], v4, s[2:3] offset:40
	global_load_dwordx4 v[0:3], v4, s[2:3]
	v_readfirstlane_b32 s5, v6
	v_readfirstlane_b32 s4, v5
	s_mov_b64 s[6:7], exec
	s_waitcnt vmcnt(1)
	v_readfirstlane_b32 s8, v7
	v_readfirstlane_b32 s9, v8
	s_and_b64 s[8:9], s[8:9], s[4:5]
	s_mul_i32 s10, s9, 24
	s_mul_hi_u32 s11, s8, 24
	s_mul_i32 s12, s8, 24
	s_add_i32 s10, s11, s10
	v_mov_b32_e32 v5, s10
	s_waitcnt vmcnt(0)
	v_add_co_u32_e32 v7, vcc, s12, v0
	v_addc_co_u32_e32 v8, vcc, v1, v5, vcc
	s_and_saveexec_b64 s[10:11], s[0:1]
	s_cbranch_execz .LBB11_8
; %bb.7:
	v_mov_b32_e32 v10, s7
	v_mov_b32_e32 v9, s6
	;; [unrolled: 1-line block ×4, first 2 shown]
	global_store_dwordx4 v[7:8], v[9:12], off offset:8
.LBB11_8:
	s_or_b64 exec, exec, s[10:11]
	s_lshl_b64 s[6:7], s[8:9], 12
	v_mov_b32_e32 v5, s7
	v_add_co_u32_e32 v2, vcc, s6, v2
	v_addc_co_u32_e32 v11, vcc, v3, v5, vcc
	v_lshlrev_b32_e32 v29, 6, v30
	s_mov_b32 s8, 0
	v_mov_b32_e32 v3, 33
	v_mov_b32_e32 v5, v4
	;; [unrolled: 1-line block ×3, first 2 shown]
	v_readfirstlane_b32 s6, v2
	v_readfirstlane_b32 s7, v11
	v_add_co_u32_e32 v9, vcc, v2, v29
	s_mov_b32 s9, s8
	s_mov_b32 s10, s8
	;; [unrolled: 1-line block ×3, first 2 shown]
	s_nop 0
	global_store_dwordx4 v29, v[3:6], s[6:7]
	v_mov_b32_e32 v2, s8
	v_addc_co_u32_e32 v10, vcc, 0, v11, vcc
	v_mov_b32_e32 v3, s9
	v_mov_b32_e32 v4, s10
	v_mov_b32_e32 v5, s11
	global_store_dwordx4 v29, v[2:5], s[6:7] offset:16
	global_store_dwordx4 v29, v[2:5], s[6:7] offset:32
	;; [unrolled: 1-line block ×3, first 2 shown]
	s_and_saveexec_b64 s[6:7], s[0:1]
	s_cbranch_execz .LBB11_16
; %bb.9:
	v_mov_b32_e32 v6, 0
	global_load_dwordx2 v[13:14], v6, s[2:3] offset:32 glc
	global_load_dwordx2 v[2:3], v6, s[2:3] offset:40
	v_mov_b32_e32 v11, s4
	v_mov_b32_e32 v12, s5
	s_waitcnt vmcnt(0)
	v_and_b32_e32 v2, s4, v2
	v_and_b32_e32 v3, s5, v3
	v_mul_lo_u32 v3, v3, 24
	v_mul_hi_u32 v4, v2, 24
	v_mul_lo_u32 v2, v2, 24
	v_add_u32_e32 v3, v4, v3
	v_add_co_u32_e32 v4, vcc, v0, v2
	v_addc_co_u32_e32 v5, vcc, v1, v3, vcc
	global_store_dwordx2 v[4:5], v[13:14], off
	s_waitcnt vmcnt(0)
	global_atomic_cmpswap_x2 v[2:3], v6, v[11:14], s[2:3] offset:32 glc
	s_waitcnt vmcnt(0)
	v_cmp_ne_u64_e32 vcc, v[2:3], v[13:14]
	s_and_saveexec_b64 s[8:9], vcc
	s_cbranch_execz .LBB11_12
; %bb.10:
	s_mov_b64 s[10:11], 0
.LBB11_11:                              ; =>This Inner Loop Header: Depth=1
	s_sleep 1
	global_store_dwordx2 v[4:5], v[2:3], off
	v_mov_b32_e32 v0, s4
	v_mov_b32_e32 v1, s5
	s_waitcnt vmcnt(0)
	global_atomic_cmpswap_x2 v[0:1], v6, v[0:3], s[2:3] offset:32 glc
	s_waitcnt vmcnt(0)
	v_cmp_eq_u64_e32 vcc, v[0:1], v[2:3]
	v_mov_b32_e32 v3, v1
	s_or_b64 s[10:11], vcc, s[10:11]
	v_mov_b32_e32 v2, v0
	s_andn2_b64 exec, exec, s[10:11]
	s_cbranch_execnz .LBB11_11
.LBB11_12:
	s_or_b64 exec, exec, s[8:9]
	v_mov_b32_e32 v3, 0
	global_load_dwordx2 v[0:1], v3, s[2:3] offset:16
	s_mov_b64 s[8:9], exec
	v_mbcnt_lo_u32_b32 v2, s8, 0
	v_mbcnt_hi_u32_b32 v2, s9, v2
	v_cmp_eq_u32_e32 vcc, 0, v2
	s_and_saveexec_b64 s[10:11], vcc
	s_cbranch_execz .LBB11_14
; %bb.13:
	s_bcnt1_i32_b64 s8, s[8:9]
	v_mov_b32_e32 v2, s8
	s_waitcnt vmcnt(0)
	global_atomic_add_x2 v[0:1], v[2:3], off offset:8
.LBB11_14:
	s_or_b64 exec, exec, s[10:11]
	s_waitcnt vmcnt(0)
	global_load_dwordx2 v[2:3], v[0:1], off offset:16
	s_waitcnt vmcnt(0)
	v_cmp_eq_u64_e32 vcc, 0, v[2:3]
	s_cbranch_vccnz .LBB11_16
; %bb.15:
	global_load_dword v0, v[0:1], off offset:24
	v_mov_b32_e32 v1, 0
	s_waitcnt vmcnt(0)
	v_readfirstlane_b32 s8, v0
	s_and_b32 m0, s8, 0xffffff
	global_store_dwordx2 v[2:3], v[0:1], off
	s_sendmsg sendmsg(MSG_INTERRUPT)
.LBB11_16:
	s_or_b64 exec, exec, s[6:7]
	s_branch .LBB11_20
.LBB11_17:                              ;   in Loop: Header=BB11_20 Depth=1
	s_or_b64 exec, exec, s[6:7]
	v_readfirstlane_b32 s6, v0
	s_cmp_eq_u32 s6, 0
	s_cbranch_scc1 .LBB11_19
; %bb.18:                               ;   in Loop: Header=BB11_20 Depth=1
	s_sleep 1
	s_cbranch_execnz .LBB11_20
	s_branch .LBB11_22
.LBB11_19:
	s_branch .LBB11_22
.LBB11_20:                              ; =>This Inner Loop Header: Depth=1
	v_mov_b32_e32 v0, 1
	s_and_saveexec_b64 s[6:7], s[0:1]
	s_cbranch_execz .LBB11_17
; %bb.21:                               ;   in Loop: Header=BB11_20 Depth=1
	global_load_dword v0, v[7:8], off offset:20 glc
	s_waitcnt vmcnt(0)
	buffer_wbinvl1_vol
	v_and_b32_e32 v0, 1, v0
	s_branch .LBB11_17
.LBB11_22:
	global_load_dwordx2 v[0:1], v[9:10], off
	s_and_saveexec_b64 s[6:7], s[0:1]
	s_cbranch_execz .LBB11_25
; %bb.23:
	v_mov_b32_e32 v8, 0
	global_load_dwordx2 v[2:3], v8, s[2:3] offset:40
	global_load_dwordx2 v[11:12], v8, s[2:3] offset:24 glc
	global_load_dwordx2 v[4:5], v8, s[2:3]
	s_waitcnt vmcnt(2)
	v_readfirstlane_b32 s8, v2
	v_readfirstlane_b32 s9, v3
	s_add_u32 s10, s8, 1
	s_addc_u32 s11, s9, 0
	s_add_u32 s0, s10, s4
	s_addc_u32 s1, s11, s5
	s_cmp_eq_u64 s[0:1], 0
	s_cselect_b32 s1, s11, s1
	s_cselect_b32 s0, s10, s0
	s_and_b64 s[4:5], s[0:1], s[8:9]
	s_mul_i32 s5, s5, 24
	s_mul_hi_u32 s8, s4, 24
	s_mul_i32 s4, s4, 24
	s_add_i32 s5, s8, s5
	v_mov_b32_e32 v2, s5
	s_waitcnt vmcnt(0)
	v_add_co_u32_e32 v6, vcc, s4, v4
	v_addc_co_u32_e32 v7, vcc, v5, v2, vcc
	v_mov_b32_e32 v9, s0
	global_store_dwordx2 v[6:7], v[11:12], off
	v_mov_b32_e32 v10, s1
	s_waitcnt vmcnt(0)
	global_atomic_cmpswap_x2 v[4:5], v8, v[9:12], s[2:3] offset:24 glc
	s_mov_b64 s[4:5], 0
	s_waitcnt vmcnt(0)
	v_cmp_ne_u64_e32 vcc, v[4:5], v[11:12]
	s_and_b64 exec, exec, vcc
	s_cbranch_execz .LBB11_25
.LBB11_24:                              ; =>This Inner Loop Header: Depth=1
	s_sleep 1
	global_store_dwordx2 v[6:7], v[4:5], off
	v_mov_b32_e32 v2, s0
	v_mov_b32_e32 v3, s1
	s_waitcnt vmcnt(0)
	global_atomic_cmpswap_x2 v[2:3], v8, v[2:5], s[2:3] offset:24 glc
	s_waitcnt vmcnt(0)
	v_cmp_eq_u64_e32 vcc, v[2:3], v[4:5]
	v_mov_b32_e32 v5, v3
	s_or_b64 s[4:5], vcc, s[4:5]
	v_mov_b32_e32 v4, v2
	s_andn2_b64 exec, exec, s[4:5]
	s_cbranch_execnz .LBB11_24
.LBB11_25:
	s_or_b64 exec, exec, s[6:7]
	s_getpc_b64 s[4:5]
	s_add_u32 s4, s4, .str@rel32@lo+4
	s_addc_u32 s5, s5, .str@rel32@hi+12
	s_cmp_lg_u64 s[4:5], 0
	s_cselect_b64 s[0:1], -1, 0
	s_cmp_eq_u64 s[4:5], 0
	s_mov_b64 s[4:5], 0
	s_cbranch_scc1 .LBB11_29
; %bb.26:
	v_mov_b32_e32 v2, 0
	s_getpc_b64 s[4:5]
	s_add_u32 s4, s4, .str@rel32@lo+3
	s_addc_u32 s5, s5, .str@rel32@hi+11
.LBB11_27:                              ; =>This Inner Loop Header: Depth=1
	global_load_ubyte v3, v2, s[4:5] offset:1
	s_add_u32 s6, s4, 1
	s_addc_u32 s7, s5, 0
	s_mov_b64 s[4:5], s[6:7]
	s_waitcnt vmcnt(0)
	v_cmp_ne_u32_e32 vcc, 0, v3
	s_cbranch_vccnz .LBB11_27
; %bb.28:
	s_getpc_b64 s[4:5]
	s_add_u32 s4, s4, .str@rel32@lo+4
	s_addc_u32 s5, s5, .str@rel32@hi+12
	s_sub_u32 s4, s6, s4
	s_subb_u32 s5, s7, s5
	s_add_u32 s4, s4, 1
	s_addc_u32 s5, s5, 0
.LBB11_29:
	s_and_b64 vcc, exec, s[0:1]
	s_cbranch_vccz .LBB11_115
; %bb.30:
	s_waitcnt vmcnt(0)
	v_and_b32_e32 v6, -3, v0
	v_mov_b32_e32 v7, v1
	v_mov_b32_e32 v26, 0
	;; [unrolled: 1-line block ×4, first 2 shown]
	s_getpc_b64 s[6:7]
	s_add_u32 s6, s6, .str@rel32@lo+4
	s_addc_u32 s7, s7, .str@rel32@hi+12
	s_branch .LBB11_32
.LBB11_31:                              ;   in Loop: Header=BB11_32 Depth=1
	s_or_b64 exec, exec, s[12:13]
	s_sub_u32 s4, s4, s8
	s_subb_u32 s5, s5, s9
	s_add_u32 s6, s6, s8
	s_addc_u32 s7, s7, s9
	s_cmp_lg_u64 s[4:5], 0
	s_cbranch_scc0 .LBB11_114
.LBB11_32:                              ; =>This Loop Header: Depth=1
                                        ;     Child Loop BB11_35 Depth 2
                                        ;     Child Loop BB11_43 Depth 2
	;; [unrolled: 1-line block ×11, first 2 shown]
	v_cmp_lt_u64_e64 s[0:1], s[4:5], 56
	v_cmp_gt_u64_e64 s[10:11], s[4:5], 7
	s_and_b64 s[0:1], s[0:1], exec
	s_cselect_b32 s9, s5, 0
	s_cselect_b32 s8, s4, 56
	s_add_u32 s0, s6, 8
	s_addc_u32 s1, s7, 0
	s_and_b64 vcc, exec, s[10:11]
	s_cbranch_vccnz .LBB11_36
; %bb.33:                               ;   in Loop: Header=BB11_32 Depth=1
	s_cmp_eq_u64 s[4:5], 0
	s_cbranch_scc1 .LBB11_37
; %bb.34:                               ;   in Loop: Header=BB11_32 Depth=1
	s_waitcnt vmcnt(0)
	v_mov_b32_e32 v8, 0
	s_lshl_b64 s[0:1], s[8:9], 3
	s_mov_b64 s[10:11], 0
	v_mov_b32_e32 v9, 0
	s_mov_b64 s[12:13], s[6:7]
.LBB11_35:                              ;   Parent Loop BB11_32 Depth=1
                                        ; =>  This Inner Loop Header: Depth=2
	global_load_ubyte v2, v26, s[12:13]
	s_waitcnt vmcnt(0)
	v_and_b32_e32 v25, 0xffff, v2
	v_lshlrev_b64 v[2:3], s10, v[25:26]
	s_add_u32 s10, s10, 8
	s_addc_u32 s11, s11, 0
	s_add_u32 s12, s12, 1
	s_addc_u32 s13, s13, 0
	v_or_b32_e32 v8, v2, v8
	s_cmp_lg_u32 s0, s10
	v_or_b32_e32 v9, v3, v9
	s_cbranch_scc1 .LBB11_35
	s_branch .LBB11_38
.LBB11_36:                              ;   in Loop: Header=BB11_32 Depth=1
	s_mov_b32 s14, 0
	s_branch .LBB11_39
.LBB11_37:                              ;   in Loop: Header=BB11_32 Depth=1
	s_waitcnt vmcnt(0)
	v_mov_b32_e32 v8, 0
	v_mov_b32_e32 v9, 0
.LBB11_38:                              ;   in Loop: Header=BB11_32 Depth=1
	s_mov_b64 s[0:1], s[6:7]
	s_mov_b32 s14, 0
	s_cbranch_execnz .LBB11_40
.LBB11_39:                              ;   in Loop: Header=BB11_32 Depth=1
	global_load_dwordx2 v[8:9], v26, s[6:7]
	s_add_i32 s14, s8, -8
.LBB11_40:                              ;   in Loop: Header=BB11_32 Depth=1
	s_add_u32 s10, s0, 8
	s_addc_u32 s11, s1, 0
	s_cmp_gt_u32 s14, 7
	s_cbranch_scc1 .LBB11_44
; %bb.41:                               ;   in Loop: Header=BB11_32 Depth=1
	s_cmp_eq_u32 s14, 0
	s_cbranch_scc1 .LBB11_45
; %bb.42:                               ;   in Loop: Header=BB11_32 Depth=1
	v_mov_b32_e32 v10, 0
	s_mov_b64 s[10:11], 0
	v_mov_b32_e32 v11, 0
	s_mov_b64 s[12:13], 0
.LBB11_43:                              ;   Parent Loop BB11_32 Depth=1
                                        ; =>  This Inner Loop Header: Depth=2
	s_add_u32 s16, s0, s12
	s_addc_u32 s17, s1, s13
	global_load_ubyte v2, v26, s[16:17]
	s_add_u32 s12, s12, 1
	s_addc_u32 s13, s13, 0
	s_waitcnt vmcnt(0)
	v_and_b32_e32 v25, 0xffff, v2
	v_lshlrev_b64 v[2:3], s10, v[25:26]
	s_add_u32 s10, s10, 8
	s_addc_u32 s11, s11, 0
	v_or_b32_e32 v10, v2, v10
	s_cmp_lg_u32 s14, s12
	v_or_b32_e32 v11, v3, v11
	s_cbranch_scc1 .LBB11_43
	s_branch .LBB11_46
.LBB11_44:                              ;   in Loop: Header=BB11_32 Depth=1
                                        ; implicit-def: $vgpr10_vgpr11
	s_mov_b32 s15, 0
	s_branch .LBB11_47
.LBB11_45:                              ;   in Loop: Header=BB11_32 Depth=1
	v_mov_b32_e32 v10, 0
	v_mov_b32_e32 v11, 0
.LBB11_46:                              ;   in Loop: Header=BB11_32 Depth=1
	s_mov_b64 s[10:11], s[0:1]
	s_mov_b32 s15, 0
	s_cbranch_execnz .LBB11_48
.LBB11_47:                              ;   in Loop: Header=BB11_32 Depth=1
	global_load_dwordx2 v[10:11], v26, s[0:1]
	s_add_i32 s15, s14, -8
.LBB11_48:                              ;   in Loop: Header=BB11_32 Depth=1
	s_add_u32 s0, s10, 8
	s_addc_u32 s1, s11, 0
	s_cmp_gt_u32 s15, 7
	s_cbranch_scc1 .LBB11_52
; %bb.49:                               ;   in Loop: Header=BB11_32 Depth=1
	s_cmp_eq_u32 s15, 0
	s_cbranch_scc1 .LBB11_53
; %bb.50:                               ;   in Loop: Header=BB11_32 Depth=1
	v_mov_b32_e32 v12, 0
	s_mov_b64 s[0:1], 0
	v_mov_b32_e32 v13, 0
	s_mov_b64 s[12:13], 0
.LBB11_51:                              ;   Parent Loop BB11_32 Depth=1
                                        ; =>  This Inner Loop Header: Depth=2
	s_add_u32 s16, s10, s12
	s_addc_u32 s17, s11, s13
	global_load_ubyte v2, v26, s[16:17]
	s_add_u32 s12, s12, 1
	s_addc_u32 s13, s13, 0
	s_waitcnt vmcnt(0)
	v_and_b32_e32 v25, 0xffff, v2
	v_lshlrev_b64 v[2:3], s0, v[25:26]
	s_add_u32 s0, s0, 8
	s_addc_u32 s1, s1, 0
	v_or_b32_e32 v12, v2, v12
	s_cmp_lg_u32 s15, s12
	v_or_b32_e32 v13, v3, v13
	s_cbranch_scc1 .LBB11_51
	s_branch .LBB11_54
.LBB11_52:                              ;   in Loop: Header=BB11_32 Depth=1
	s_mov_b32 s14, 0
	s_branch .LBB11_55
.LBB11_53:                              ;   in Loop: Header=BB11_32 Depth=1
	v_mov_b32_e32 v12, 0
	v_mov_b32_e32 v13, 0
.LBB11_54:                              ;   in Loop: Header=BB11_32 Depth=1
	s_mov_b64 s[0:1], s[10:11]
	s_mov_b32 s14, 0
	s_cbranch_execnz .LBB11_56
.LBB11_55:                              ;   in Loop: Header=BB11_32 Depth=1
	global_load_dwordx2 v[12:13], v26, s[10:11]
	s_add_i32 s14, s15, -8
.LBB11_56:                              ;   in Loop: Header=BB11_32 Depth=1
	s_add_u32 s10, s0, 8
	s_addc_u32 s11, s1, 0
	s_cmp_gt_u32 s14, 7
	s_cbranch_scc1 .LBB11_60
; %bb.57:                               ;   in Loop: Header=BB11_32 Depth=1
	s_cmp_eq_u32 s14, 0
	s_cbranch_scc1 .LBB11_61
; %bb.58:                               ;   in Loop: Header=BB11_32 Depth=1
	v_mov_b32_e32 v14, 0
	s_mov_b64 s[10:11], 0
	v_mov_b32_e32 v15, 0
	s_mov_b64 s[12:13], 0
.LBB11_59:                              ;   Parent Loop BB11_32 Depth=1
                                        ; =>  This Inner Loop Header: Depth=2
	s_add_u32 s16, s0, s12
	s_addc_u32 s17, s1, s13
	global_load_ubyte v2, v26, s[16:17]
	s_add_u32 s12, s12, 1
	s_addc_u32 s13, s13, 0
	s_waitcnt vmcnt(0)
	v_and_b32_e32 v25, 0xffff, v2
	v_lshlrev_b64 v[2:3], s10, v[25:26]
	s_add_u32 s10, s10, 8
	s_addc_u32 s11, s11, 0
	v_or_b32_e32 v14, v2, v14
	s_cmp_lg_u32 s14, s12
	v_or_b32_e32 v15, v3, v15
	s_cbranch_scc1 .LBB11_59
	s_branch .LBB11_62
.LBB11_60:                              ;   in Loop: Header=BB11_32 Depth=1
                                        ; implicit-def: $vgpr14_vgpr15
	s_mov_b32 s15, 0
	s_branch .LBB11_63
.LBB11_61:                              ;   in Loop: Header=BB11_32 Depth=1
	v_mov_b32_e32 v14, 0
	v_mov_b32_e32 v15, 0
.LBB11_62:                              ;   in Loop: Header=BB11_32 Depth=1
	s_mov_b64 s[10:11], s[0:1]
	s_mov_b32 s15, 0
	s_cbranch_execnz .LBB11_64
.LBB11_63:                              ;   in Loop: Header=BB11_32 Depth=1
	global_load_dwordx2 v[14:15], v26, s[0:1]
	s_add_i32 s15, s14, -8
.LBB11_64:                              ;   in Loop: Header=BB11_32 Depth=1
	s_add_u32 s0, s10, 8
	s_addc_u32 s1, s11, 0
	s_cmp_gt_u32 s15, 7
	s_cbranch_scc1 .LBB11_68
; %bb.65:                               ;   in Loop: Header=BB11_32 Depth=1
	s_cmp_eq_u32 s15, 0
	s_cbranch_scc1 .LBB11_69
; %bb.66:                               ;   in Loop: Header=BB11_32 Depth=1
	v_mov_b32_e32 v16, 0
	s_mov_b64 s[0:1], 0
	v_mov_b32_e32 v17, 0
	s_mov_b64 s[12:13], 0
.LBB11_67:                              ;   Parent Loop BB11_32 Depth=1
                                        ; =>  This Inner Loop Header: Depth=2
	s_add_u32 s16, s10, s12
	s_addc_u32 s17, s11, s13
	global_load_ubyte v2, v26, s[16:17]
	s_add_u32 s12, s12, 1
	s_addc_u32 s13, s13, 0
	s_waitcnt vmcnt(0)
	v_and_b32_e32 v25, 0xffff, v2
	v_lshlrev_b64 v[2:3], s0, v[25:26]
	s_add_u32 s0, s0, 8
	s_addc_u32 s1, s1, 0
	v_or_b32_e32 v16, v2, v16
	s_cmp_lg_u32 s15, s12
	v_or_b32_e32 v17, v3, v17
	s_cbranch_scc1 .LBB11_67
	s_branch .LBB11_70
.LBB11_68:                              ;   in Loop: Header=BB11_32 Depth=1
	s_mov_b32 s14, 0
	s_branch .LBB11_71
.LBB11_69:                              ;   in Loop: Header=BB11_32 Depth=1
	v_mov_b32_e32 v16, 0
	v_mov_b32_e32 v17, 0
.LBB11_70:                              ;   in Loop: Header=BB11_32 Depth=1
	s_mov_b64 s[0:1], s[10:11]
	s_mov_b32 s14, 0
	s_cbranch_execnz .LBB11_72
.LBB11_71:                              ;   in Loop: Header=BB11_32 Depth=1
	global_load_dwordx2 v[16:17], v26, s[10:11]
	s_add_i32 s14, s15, -8
.LBB11_72:                              ;   in Loop: Header=BB11_32 Depth=1
	s_add_u32 s10, s0, 8
	s_addc_u32 s11, s1, 0
	s_cmp_gt_u32 s14, 7
	s_cbranch_scc1 .LBB11_76
; %bb.73:                               ;   in Loop: Header=BB11_32 Depth=1
	s_cmp_eq_u32 s14, 0
	s_cbranch_scc1 .LBB11_77
; %bb.74:                               ;   in Loop: Header=BB11_32 Depth=1
	v_mov_b32_e32 v18, 0
	s_mov_b64 s[10:11], 0
	v_mov_b32_e32 v19, 0
	s_mov_b64 s[12:13], 0
.LBB11_75:                              ;   Parent Loop BB11_32 Depth=1
                                        ; =>  This Inner Loop Header: Depth=2
	s_add_u32 s16, s0, s12
	s_addc_u32 s17, s1, s13
	global_load_ubyte v2, v26, s[16:17]
	s_add_u32 s12, s12, 1
	s_addc_u32 s13, s13, 0
	s_waitcnt vmcnt(0)
	v_and_b32_e32 v25, 0xffff, v2
	v_lshlrev_b64 v[2:3], s10, v[25:26]
	s_add_u32 s10, s10, 8
	s_addc_u32 s11, s11, 0
	v_or_b32_e32 v18, v2, v18
	s_cmp_lg_u32 s14, s12
	v_or_b32_e32 v19, v3, v19
	s_cbranch_scc1 .LBB11_75
	s_branch .LBB11_78
.LBB11_76:                              ;   in Loop: Header=BB11_32 Depth=1
                                        ; implicit-def: $vgpr18_vgpr19
	s_mov_b32 s15, 0
	s_branch .LBB11_79
.LBB11_77:                              ;   in Loop: Header=BB11_32 Depth=1
	v_mov_b32_e32 v18, 0
	v_mov_b32_e32 v19, 0
.LBB11_78:                              ;   in Loop: Header=BB11_32 Depth=1
	s_mov_b64 s[10:11], s[0:1]
	s_mov_b32 s15, 0
	s_cbranch_execnz .LBB11_80
.LBB11_79:                              ;   in Loop: Header=BB11_32 Depth=1
	global_load_dwordx2 v[18:19], v26, s[0:1]
	s_add_i32 s15, s14, -8
.LBB11_80:                              ;   in Loop: Header=BB11_32 Depth=1
	s_cmp_gt_u32 s15, 7
	s_cbranch_scc1 .LBB11_84
; %bb.81:                               ;   in Loop: Header=BB11_32 Depth=1
	s_cmp_eq_u32 s15, 0
	s_cbranch_scc1 .LBB11_85
; %bb.82:                               ;   in Loop: Header=BB11_32 Depth=1
	v_mov_b32_e32 v20, 0
	s_mov_b64 s[0:1], 0
	v_mov_b32_e32 v21, 0
	s_mov_b64 s[12:13], s[10:11]
.LBB11_83:                              ;   Parent Loop BB11_32 Depth=1
                                        ; =>  This Inner Loop Header: Depth=2
	global_load_ubyte v2, v26, s[12:13]
	s_add_i32 s15, s15, -1
	s_waitcnt vmcnt(0)
	v_and_b32_e32 v25, 0xffff, v2
	v_lshlrev_b64 v[2:3], s0, v[25:26]
	s_add_u32 s0, s0, 8
	s_addc_u32 s1, s1, 0
	s_add_u32 s12, s12, 1
	s_addc_u32 s13, s13, 0
	v_or_b32_e32 v20, v2, v20
	s_cmp_lg_u32 s15, 0
	v_or_b32_e32 v21, v3, v21
	s_cbranch_scc1 .LBB11_83
	s_branch .LBB11_86
.LBB11_84:                              ;   in Loop: Header=BB11_32 Depth=1
	s_branch .LBB11_87
.LBB11_85:                              ;   in Loop: Header=BB11_32 Depth=1
	v_mov_b32_e32 v20, 0
	v_mov_b32_e32 v21, 0
.LBB11_86:                              ;   in Loop: Header=BB11_32 Depth=1
	s_cbranch_execnz .LBB11_88
.LBB11_87:                              ;   in Loop: Header=BB11_32 Depth=1
	global_load_dwordx2 v[20:21], v26, s[10:11]
.LBB11_88:                              ;   in Loop: Header=BB11_32 Depth=1
	v_readfirstlane_b32 s0, v30
	v_mov_b32_e32 v2, 0
	v_mov_b32_e32 v3, 0
	v_cmp_eq_u32_e64 s[0:1], s0, v30
	s_and_saveexec_b64 s[10:11], s[0:1]
	s_cbranch_execz .LBB11_94
; %bb.89:                               ;   in Loop: Header=BB11_32 Depth=1
	global_load_dwordx2 v[24:25], v26, s[2:3] offset:24 glc
	s_waitcnt vmcnt(0)
	buffer_wbinvl1_vol
	global_load_dwordx2 v[2:3], v26, s[2:3] offset:40
	global_load_dwordx2 v[22:23], v26, s[2:3]
	s_waitcnt vmcnt(1)
	v_and_b32_e32 v2, v2, v24
	v_and_b32_e32 v3, v3, v25
	v_mul_lo_u32 v3, v3, 24
	v_mul_hi_u32 v27, v2, 24
	v_mul_lo_u32 v2, v2, 24
	v_add_u32_e32 v3, v27, v3
	s_waitcnt vmcnt(0)
	v_add_co_u32_e32 v2, vcc, v22, v2
	v_addc_co_u32_e32 v3, vcc, v23, v3, vcc
	global_load_dwordx2 v[22:23], v[2:3], off glc
	s_waitcnt vmcnt(0)
	global_atomic_cmpswap_x2 v[2:3], v26, v[22:25], s[2:3] offset:24 glc
	s_waitcnt vmcnt(0)
	buffer_wbinvl1_vol
	v_cmp_ne_u64_e32 vcc, v[2:3], v[24:25]
	s_and_saveexec_b64 s[12:13], vcc
	s_cbranch_execz .LBB11_93
; %bb.90:                               ;   in Loop: Header=BB11_32 Depth=1
	s_mov_b64 s[14:15], 0
.LBB11_91:                              ;   Parent Loop BB11_32 Depth=1
                                        ; =>  This Inner Loop Header: Depth=2
	s_sleep 1
	global_load_dwordx2 v[22:23], v26, s[2:3] offset:40
	global_load_dwordx2 v[27:28], v26, s[2:3]
	v_mov_b32_e32 v25, v3
	v_mov_b32_e32 v24, v2
	s_waitcnt vmcnt(1)
	v_and_b32_e32 v2, v22, v24
	s_waitcnt vmcnt(0)
	v_mad_u64_u32 v[2:3], s[16:17], v2, 24, v[27:28]
	v_and_b32_e32 v22, v23, v25
	v_mad_u64_u32 v[22:23], s[16:17], v22, 24, v[3:4]
	v_mov_b32_e32 v3, v22
	global_load_dwordx2 v[22:23], v[2:3], off glc
	s_waitcnt vmcnt(0)
	global_atomic_cmpswap_x2 v[2:3], v26, v[22:25], s[2:3] offset:24 glc
	s_waitcnt vmcnt(0)
	buffer_wbinvl1_vol
	v_cmp_eq_u64_e32 vcc, v[2:3], v[24:25]
	s_or_b64 s[14:15], vcc, s[14:15]
	s_andn2_b64 exec, exec, s[14:15]
	s_cbranch_execnz .LBB11_91
; %bb.92:                               ;   in Loop: Header=BB11_32 Depth=1
	s_or_b64 exec, exec, s[14:15]
.LBB11_93:                              ;   in Loop: Header=BB11_32 Depth=1
	s_or_b64 exec, exec, s[12:13]
.LBB11_94:                              ;   in Loop: Header=BB11_32 Depth=1
	s_or_b64 exec, exec, s[10:11]
	global_load_dwordx2 v[27:28], v26, s[2:3] offset:40
	global_load_dwordx4 v[22:25], v26, s[2:3]
	v_readfirstlane_b32 s11, v3
	v_readfirstlane_b32 s10, v2
	s_mov_b64 s[12:13], exec
	s_waitcnt vmcnt(1)
	v_readfirstlane_b32 s14, v27
	v_readfirstlane_b32 s15, v28
	s_and_b64 s[14:15], s[14:15], s[10:11]
	s_mul_i32 s16, s15, 24
	s_mul_hi_u32 s17, s14, 24
	s_mul_i32 s18, s14, 24
	s_add_i32 s16, s17, s16
	v_mov_b32_e32 v2, s16
	s_waitcnt vmcnt(0)
	v_add_co_u32_e32 v27, vcc, s18, v22
	v_addc_co_u32_e32 v28, vcc, v23, v2, vcc
	s_and_saveexec_b64 s[16:17], s[0:1]
	s_cbranch_execz .LBB11_96
; %bb.95:                               ;   in Loop: Header=BB11_32 Depth=1
	v_mov_b32_e32 v2, s12
	v_mov_b32_e32 v3, s13
	global_store_dwordx4 v[27:28], v[2:5], off offset:8
.LBB11_96:                              ;   in Loop: Header=BB11_32 Depth=1
	s_or_b64 exec, exec, s[16:17]
	s_lshl_b64 s[12:13], s[14:15], 12
	v_cmp_gt_u64_e64 s[14:15], s[4:5], 56
	v_mov_b32_e32 v2, s13
	v_add_co_u32_e32 v24, vcc, s12, v24
	s_and_b64 s[12:13], s[14:15], exec
	s_cselect_b32 s12, 0, 2
	s_lshl_b32 s13, s8, 2
	v_addc_co_u32_e32 v31, vcc, v25, v2, vcc
	s_add_i32 s13, s13, 28
	v_and_b32_e32 v2, 0xffffff1f, v6
	s_and_b32 s13, s13, 0x1e0
	v_or_b32_e32 v2, s12, v2
	v_or_b32_e32 v6, s13, v2
	v_readfirstlane_b32 s12, v24
	v_readfirstlane_b32 s13, v31
	s_nop 4
	global_store_dwordx4 v29, v[6:9], s[12:13]
	global_store_dwordx4 v29, v[10:13], s[12:13] offset:16
	global_store_dwordx4 v29, v[14:17], s[12:13] offset:32
	;; [unrolled: 1-line block ×3, first 2 shown]
	s_and_saveexec_b64 s[12:13], s[0:1]
	s_cbranch_execz .LBB11_104
; %bb.97:                               ;   in Loop: Header=BB11_32 Depth=1
	global_load_dwordx2 v[10:11], v26, s[2:3] offset:32 glc
	global_load_dwordx2 v[2:3], v26, s[2:3] offset:40
	v_mov_b32_e32 v8, s10
	v_mov_b32_e32 v9, s11
	s_waitcnt vmcnt(0)
	v_readfirstlane_b32 s14, v2
	v_readfirstlane_b32 s15, v3
	s_and_b64 s[14:15], s[14:15], s[10:11]
	s_mul_i32 s15, s15, 24
	s_mul_hi_u32 s16, s14, 24
	s_mul_i32 s14, s14, 24
	s_add_i32 s15, s16, s15
	v_mov_b32_e32 v3, s15
	v_add_co_u32_e32 v2, vcc, s14, v22
	v_addc_co_u32_e32 v3, vcc, v23, v3, vcc
	global_store_dwordx2 v[2:3], v[10:11], off
	s_waitcnt vmcnt(0)
	global_atomic_cmpswap_x2 v[8:9], v26, v[8:11], s[2:3] offset:32 glc
	s_waitcnt vmcnt(0)
	v_cmp_ne_u64_e32 vcc, v[8:9], v[10:11]
	s_and_saveexec_b64 s[14:15], vcc
	s_cbranch_execz .LBB11_100
; %bb.98:                               ;   in Loop: Header=BB11_32 Depth=1
	s_mov_b64 s[16:17], 0
.LBB11_99:                              ;   Parent Loop BB11_32 Depth=1
                                        ; =>  This Inner Loop Header: Depth=2
	s_sleep 1
	global_store_dwordx2 v[2:3], v[8:9], off
	v_mov_b32_e32 v6, s10
	v_mov_b32_e32 v7, s11
	s_waitcnt vmcnt(0)
	global_atomic_cmpswap_x2 v[6:7], v26, v[6:9], s[2:3] offset:32 glc
	s_waitcnt vmcnt(0)
	v_cmp_eq_u64_e32 vcc, v[6:7], v[8:9]
	v_mov_b32_e32 v9, v7
	s_or_b64 s[16:17], vcc, s[16:17]
	v_mov_b32_e32 v8, v6
	s_andn2_b64 exec, exec, s[16:17]
	s_cbranch_execnz .LBB11_99
.LBB11_100:                             ;   in Loop: Header=BB11_32 Depth=1
	s_or_b64 exec, exec, s[14:15]
	global_load_dwordx2 v[2:3], v26, s[2:3] offset:16
	s_mov_b64 s[16:17], exec
	v_mbcnt_lo_u32_b32 v6, s16, 0
	v_mbcnt_hi_u32_b32 v6, s17, v6
	v_cmp_eq_u32_e32 vcc, 0, v6
	s_and_saveexec_b64 s[14:15], vcc
	s_cbranch_execz .LBB11_102
; %bb.101:                              ;   in Loop: Header=BB11_32 Depth=1
	s_bcnt1_i32_b64 s16, s[16:17]
	v_mov_b32_e32 v25, s16
	s_waitcnt vmcnt(0)
	global_atomic_add_x2 v[2:3], v[25:26], off offset:8
.LBB11_102:                             ;   in Loop: Header=BB11_32 Depth=1
	s_or_b64 exec, exec, s[14:15]
	s_waitcnt vmcnt(0)
	global_load_dwordx2 v[6:7], v[2:3], off offset:16
	s_waitcnt vmcnt(0)
	v_cmp_eq_u64_e32 vcc, 0, v[6:7]
	s_cbranch_vccnz .LBB11_104
; %bb.103:                              ;   in Loop: Header=BB11_32 Depth=1
	global_load_dword v25, v[2:3], off offset:24
	s_waitcnt vmcnt(0)
	v_readfirstlane_b32 s14, v25
	s_and_b32 m0, s14, 0xffffff
	global_store_dwordx2 v[6:7], v[25:26], off
	s_sendmsg sendmsg(MSG_INTERRUPT)
.LBB11_104:                             ;   in Loop: Header=BB11_32 Depth=1
	s_or_b64 exec, exec, s[12:13]
	v_add_co_u32_e32 v2, vcc, v24, v29
	v_addc_co_u32_e32 v3, vcc, 0, v31, vcc
	s_branch .LBB11_108
.LBB11_105:                             ;   in Loop: Header=BB11_108 Depth=2
	s_or_b64 exec, exec, s[12:13]
	v_readfirstlane_b32 s12, v6
	s_cmp_eq_u32 s12, 0
	s_cbranch_scc1 .LBB11_107
; %bb.106:                              ;   in Loop: Header=BB11_108 Depth=2
	s_sleep 1
	s_cbranch_execnz .LBB11_108
	s_branch .LBB11_110
.LBB11_107:                             ;   in Loop: Header=BB11_32 Depth=1
	s_branch .LBB11_110
.LBB11_108:                             ;   Parent Loop BB11_32 Depth=1
                                        ; =>  This Inner Loop Header: Depth=2
	v_mov_b32_e32 v6, 1
	s_and_saveexec_b64 s[12:13], s[0:1]
	s_cbranch_execz .LBB11_105
; %bb.109:                              ;   in Loop: Header=BB11_108 Depth=2
	global_load_dword v6, v[27:28], off offset:20 glc
	s_waitcnt vmcnt(0)
	buffer_wbinvl1_vol
	v_and_b32_e32 v6, 1, v6
	s_branch .LBB11_105
.LBB11_110:                             ;   in Loop: Header=BB11_32 Depth=1
	global_load_dwordx4 v[6:9], v[2:3], off
	s_and_saveexec_b64 s[12:13], s[0:1]
	s_cbranch_execz .LBB11_31
; %bb.111:                              ;   in Loop: Header=BB11_32 Depth=1
	global_load_dwordx2 v[2:3], v26, s[2:3] offset:40
	global_load_dwordx2 v[12:13], v26, s[2:3] offset:24 glc
	global_load_dwordx2 v[8:9], v26, s[2:3]
	s_waitcnt vmcnt(2)
	v_readfirstlane_b32 s14, v2
	v_readfirstlane_b32 s15, v3
	s_add_u32 s16, s14, 1
	s_addc_u32 s17, s15, 0
	s_add_u32 s0, s16, s10
	s_addc_u32 s1, s17, s11
	s_cmp_eq_u64 s[0:1], 0
	s_cselect_b32 s1, s17, s1
	s_cselect_b32 s0, s16, s0
	s_and_b64 s[10:11], s[0:1], s[14:15]
	s_mul_i32 s11, s11, 24
	s_mul_hi_u32 s14, s10, 24
	s_mul_i32 s10, s10, 24
	s_add_i32 s11, s14, s11
	v_mov_b32_e32 v3, s11
	s_waitcnt vmcnt(0)
	v_add_co_u32_e32 v2, vcc, s10, v8
	v_addc_co_u32_e32 v3, vcc, v9, v3, vcc
	v_mov_b32_e32 v10, s0
	global_store_dwordx2 v[2:3], v[12:13], off
	v_mov_b32_e32 v11, s1
	s_waitcnt vmcnt(0)
	global_atomic_cmpswap_x2 v[10:11], v26, v[10:13], s[2:3] offset:24 glc
	s_waitcnt vmcnt(0)
	v_cmp_ne_u64_e32 vcc, v[10:11], v[12:13]
	s_and_b64 exec, exec, vcc
	s_cbranch_execz .LBB11_31
; %bb.112:                              ;   in Loop: Header=BB11_32 Depth=1
	s_mov_b64 s[10:11], 0
.LBB11_113:                             ;   Parent Loop BB11_32 Depth=1
                                        ; =>  This Inner Loop Header: Depth=2
	s_sleep 1
	global_store_dwordx2 v[2:3], v[10:11], off
	v_mov_b32_e32 v8, s0
	v_mov_b32_e32 v9, s1
	s_waitcnt vmcnt(0)
	global_atomic_cmpswap_x2 v[8:9], v26, v[8:11], s[2:3] offset:24 glc
	s_waitcnt vmcnt(0)
	v_cmp_eq_u64_e32 vcc, v[8:9], v[10:11]
	v_mov_b32_e32 v11, v9
	s_or_b64 s[10:11], vcc, s[10:11]
	v_mov_b32_e32 v10, v8
	s_andn2_b64 exec, exec, s[10:11]
	s_cbranch_execnz .LBB11_113
	s_branch .LBB11_31
.LBB11_114:
	s_branch .LBB11_141
.LBB11_115:
	s_cbranch_execz .LBB11_141
; %bb.116:
	v_readfirstlane_b32 s0, v30
	s_waitcnt vmcnt(0)
	v_mov_b32_e32 v8, 0
	v_mov_b32_e32 v9, 0
	v_cmp_eq_u32_e64 s[0:1], s0, v30
	s_and_saveexec_b64 s[4:5], s[0:1]
	s_cbranch_execz .LBB11_122
; %bb.117:
	v_mov_b32_e32 v2, 0
	global_load_dwordx2 v[5:6], v2, s[2:3] offset:24 glc
	s_waitcnt vmcnt(0)
	buffer_wbinvl1_vol
	global_load_dwordx2 v[3:4], v2, s[2:3] offset:40
	global_load_dwordx2 v[7:8], v2, s[2:3]
	s_waitcnt vmcnt(1)
	v_and_b32_e32 v3, v3, v5
	v_and_b32_e32 v4, v4, v6
	v_mul_lo_u32 v4, v4, 24
	v_mul_hi_u32 v9, v3, 24
	v_mul_lo_u32 v3, v3, 24
	v_add_u32_e32 v4, v9, v4
	s_waitcnt vmcnt(0)
	v_add_co_u32_e32 v3, vcc, v7, v3
	v_addc_co_u32_e32 v4, vcc, v8, v4, vcc
	global_load_dwordx2 v[3:4], v[3:4], off glc
	s_waitcnt vmcnt(0)
	global_atomic_cmpswap_x2 v[8:9], v2, v[3:6], s[2:3] offset:24 glc
	s_waitcnt vmcnt(0)
	buffer_wbinvl1_vol
	v_cmp_ne_u64_e32 vcc, v[8:9], v[5:6]
	s_and_saveexec_b64 s[6:7], vcc
	s_cbranch_execz .LBB11_121
; %bb.118:
	s_mov_b64 s[8:9], 0
.LBB11_119:                             ; =>This Inner Loop Header: Depth=1
	s_sleep 1
	global_load_dwordx2 v[3:4], v2, s[2:3] offset:40
	global_load_dwordx2 v[10:11], v2, s[2:3]
	v_mov_b32_e32 v5, v8
	v_mov_b32_e32 v6, v9
	s_waitcnt vmcnt(1)
	v_and_b32_e32 v3, v3, v5
	s_waitcnt vmcnt(0)
	v_mad_u64_u32 v[7:8], s[10:11], v3, 24, v[10:11]
	v_and_b32_e32 v4, v4, v6
	v_mov_b32_e32 v3, v8
	v_mad_u64_u32 v[3:4], s[10:11], v4, 24, v[3:4]
	v_mov_b32_e32 v8, v3
	global_load_dwordx2 v[3:4], v[7:8], off glc
	s_waitcnt vmcnt(0)
	global_atomic_cmpswap_x2 v[8:9], v2, v[3:6], s[2:3] offset:24 glc
	s_waitcnt vmcnt(0)
	buffer_wbinvl1_vol
	v_cmp_eq_u64_e32 vcc, v[8:9], v[5:6]
	s_or_b64 s[8:9], vcc, s[8:9]
	s_andn2_b64 exec, exec, s[8:9]
	s_cbranch_execnz .LBB11_119
; %bb.120:
	s_or_b64 exec, exec, s[8:9]
.LBB11_121:
	s_or_b64 exec, exec, s[6:7]
.LBB11_122:
	s_or_b64 exec, exec, s[4:5]
	v_mov_b32_e32 v2, 0
	global_load_dwordx2 v[10:11], v2, s[2:3] offset:40
	global_load_dwordx4 v[4:7], v2, s[2:3]
	v_readfirstlane_b32 s5, v9
	v_readfirstlane_b32 s4, v8
	s_mov_b64 s[6:7], exec
	s_waitcnt vmcnt(1)
	v_readfirstlane_b32 s8, v10
	v_readfirstlane_b32 s9, v11
	s_and_b64 s[8:9], s[8:9], s[4:5]
	s_mul_i32 s10, s9, 24
	s_mul_hi_u32 s11, s8, 24
	s_mul_i32 s12, s8, 24
	s_add_i32 s10, s11, s10
	v_mov_b32_e32 v3, s10
	s_waitcnt vmcnt(0)
	v_add_co_u32_e32 v8, vcc, s12, v4
	v_addc_co_u32_e32 v9, vcc, v5, v3, vcc
	s_and_saveexec_b64 s[10:11], s[0:1]
	s_cbranch_execz .LBB11_124
; %bb.123:
	v_mov_b32_e32 v11, s7
	v_mov_b32_e32 v10, s6
	;; [unrolled: 1-line block ×4, first 2 shown]
	global_store_dwordx4 v[8:9], v[10:13], off offset:8
.LBB11_124:
	s_or_b64 exec, exec, s[10:11]
	s_lshl_b64 s[6:7], s[8:9], 12
	v_mov_b32_e32 v3, s7
	v_add_co_u32_e32 v6, vcc, s6, v6
	v_addc_co_u32_e32 v7, vcc, v7, v3, vcc
	s_movk_i32 s6, 0xff1d
	v_and_or_b32 v0, v0, s6, 34
	s_mov_b32 s8, 0
	v_mov_b32_e32 v3, v2
	v_readfirstlane_b32 s6, v6
	v_readfirstlane_b32 s7, v7
	s_mov_b32 s9, s8
	s_mov_b32 s10, s8
	;; [unrolled: 1-line block ×3, first 2 shown]
	s_nop 1
	global_store_dwordx4 v29, v[0:3], s[6:7]
	s_nop 0
	v_mov_b32_e32 v0, s8
	v_mov_b32_e32 v1, s9
	;; [unrolled: 1-line block ×4, first 2 shown]
	global_store_dwordx4 v29, v[0:3], s[6:7] offset:16
	global_store_dwordx4 v29, v[0:3], s[6:7] offset:32
	;; [unrolled: 1-line block ×3, first 2 shown]
	s_and_saveexec_b64 s[6:7], s[0:1]
	s_cbranch_execz .LBB11_132
; %bb.125:
	v_mov_b32_e32 v6, 0
	global_load_dwordx2 v[12:13], v6, s[2:3] offset:32 glc
	global_load_dwordx2 v[0:1], v6, s[2:3] offset:40
	v_mov_b32_e32 v10, s4
	v_mov_b32_e32 v11, s5
	s_waitcnt vmcnt(0)
	v_readfirstlane_b32 s8, v0
	v_readfirstlane_b32 s9, v1
	s_and_b64 s[8:9], s[8:9], s[4:5]
	s_mul_i32 s9, s9, 24
	s_mul_hi_u32 s10, s8, 24
	s_mul_i32 s8, s8, 24
	s_add_i32 s9, s10, s9
	v_mov_b32_e32 v0, s9
	v_add_co_u32_e32 v4, vcc, s8, v4
	v_addc_co_u32_e32 v5, vcc, v5, v0, vcc
	global_store_dwordx2 v[4:5], v[12:13], off
	s_waitcnt vmcnt(0)
	global_atomic_cmpswap_x2 v[2:3], v6, v[10:13], s[2:3] offset:32 glc
	s_waitcnt vmcnt(0)
	v_cmp_ne_u64_e32 vcc, v[2:3], v[12:13]
	s_and_saveexec_b64 s[8:9], vcc
	s_cbranch_execz .LBB11_128
; %bb.126:
	s_mov_b64 s[10:11], 0
.LBB11_127:                             ; =>This Inner Loop Header: Depth=1
	s_sleep 1
	global_store_dwordx2 v[4:5], v[2:3], off
	v_mov_b32_e32 v0, s4
	v_mov_b32_e32 v1, s5
	s_waitcnt vmcnt(0)
	global_atomic_cmpswap_x2 v[0:1], v6, v[0:3], s[2:3] offset:32 glc
	s_waitcnt vmcnt(0)
	v_cmp_eq_u64_e32 vcc, v[0:1], v[2:3]
	v_mov_b32_e32 v3, v1
	s_or_b64 s[10:11], vcc, s[10:11]
	v_mov_b32_e32 v2, v0
	s_andn2_b64 exec, exec, s[10:11]
	s_cbranch_execnz .LBB11_127
.LBB11_128:
	s_or_b64 exec, exec, s[8:9]
	v_mov_b32_e32 v3, 0
	global_load_dwordx2 v[0:1], v3, s[2:3] offset:16
	s_mov_b64 s[8:9], exec
	v_mbcnt_lo_u32_b32 v2, s8, 0
	v_mbcnt_hi_u32_b32 v2, s9, v2
	v_cmp_eq_u32_e32 vcc, 0, v2
	s_and_saveexec_b64 s[10:11], vcc
	s_cbranch_execz .LBB11_130
; %bb.129:
	s_bcnt1_i32_b64 s8, s[8:9]
	v_mov_b32_e32 v2, s8
	s_waitcnt vmcnt(0)
	global_atomic_add_x2 v[0:1], v[2:3], off offset:8
.LBB11_130:
	s_or_b64 exec, exec, s[10:11]
	s_waitcnt vmcnt(0)
	global_load_dwordx2 v[2:3], v[0:1], off offset:16
	s_waitcnt vmcnt(0)
	v_cmp_eq_u64_e32 vcc, 0, v[2:3]
	s_cbranch_vccnz .LBB11_132
; %bb.131:
	global_load_dword v0, v[0:1], off offset:24
	v_mov_b32_e32 v1, 0
	s_waitcnt vmcnt(0)
	v_readfirstlane_b32 s8, v0
	s_and_b32 m0, s8, 0xffffff
	global_store_dwordx2 v[2:3], v[0:1], off
	s_sendmsg sendmsg(MSG_INTERRUPT)
.LBB11_132:
	s_or_b64 exec, exec, s[6:7]
	s_branch .LBB11_136
.LBB11_133:                             ;   in Loop: Header=BB11_136 Depth=1
	s_or_b64 exec, exec, s[6:7]
	v_readfirstlane_b32 s6, v0
	s_cmp_eq_u32 s6, 0
	s_cbranch_scc1 .LBB11_135
; %bb.134:                              ;   in Loop: Header=BB11_136 Depth=1
	s_sleep 1
	s_cbranch_execnz .LBB11_136
	s_branch .LBB11_138
.LBB11_135:
	s_branch .LBB11_138
.LBB11_136:                             ; =>This Inner Loop Header: Depth=1
	v_mov_b32_e32 v0, 1
	s_and_saveexec_b64 s[6:7], s[0:1]
	s_cbranch_execz .LBB11_133
; %bb.137:                              ;   in Loop: Header=BB11_136 Depth=1
	global_load_dword v0, v[8:9], off offset:20 glc
	s_waitcnt vmcnt(0)
	buffer_wbinvl1_vol
	v_and_b32_e32 v0, 1, v0
	s_branch .LBB11_133
.LBB11_138:
	s_and_saveexec_b64 s[6:7], s[0:1]
	s_cbranch_execz .LBB11_141
; %bb.139:
	v_mov_b32_e32 v6, 0
	global_load_dwordx2 v[0:1], v6, s[2:3] offset:40
	global_load_dwordx2 v[9:10], v6, s[2:3] offset:24 glc
	global_load_dwordx2 v[2:3], v6, s[2:3]
	s_waitcnt vmcnt(2)
	v_readfirstlane_b32 s6, v0
	v_readfirstlane_b32 s7, v1
	s_add_u32 s8, s6, 1
	s_addc_u32 s9, s7, 0
	s_add_u32 s0, s8, s4
	s_addc_u32 s1, s9, s5
	s_cmp_eq_u64 s[0:1], 0
	s_cselect_b32 s1, s9, s1
	s_cselect_b32 s0, s8, s0
	s_and_b64 s[4:5], s[0:1], s[6:7]
	s_mul_i32 s5, s5, 24
	s_mul_hi_u32 s6, s4, 24
	s_mul_i32 s4, s4, 24
	s_add_i32 s5, s6, s5
	v_mov_b32_e32 v0, s5
	s_waitcnt vmcnt(0)
	v_add_co_u32_e32 v4, vcc, s4, v2
	v_addc_co_u32_e32 v5, vcc, v3, v0, vcc
	v_mov_b32_e32 v7, s0
	global_store_dwordx2 v[4:5], v[9:10], off
	v_mov_b32_e32 v8, s1
	s_waitcnt vmcnt(0)
	global_atomic_cmpswap_x2 v[2:3], v6, v[7:10], s[2:3] offset:24 glc
	s_mov_b64 s[4:5], 0
	s_waitcnt vmcnt(0)
	v_cmp_ne_u64_e32 vcc, v[2:3], v[9:10]
	s_and_b64 exec, exec, vcc
	s_cbranch_execz .LBB11_141
.LBB11_140:                             ; =>This Inner Loop Header: Depth=1
	s_sleep 1
	global_store_dwordx2 v[4:5], v[2:3], off
	v_mov_b32_e32 v0, s0
	v_mov_b32_e32 v1, s1
	s_waitcnt vmcnt(0)
	global_atomic_cmpswap_x2 v[0:1], v6, v[0:3], s[2:3] offset:24 glc
	s_waitcnt vmcnt(0)
	v_cmp_eq_u64_e32 vcc, v[0:1], v[2:3]
	v_mov_b32_e32 v3, v1
	s_or_b64 s[4:5], vcc, s[4:5]
	v_mov_b32_e32 v2, v0
	s_andn2_b64 exec, exec, s[4:5]
	s_cbranch_execnz .LBB11_140
.LBB11_141:
	s_endpgm
	.section	.rodata,"a",@progbits
	.p2align	6, 0x0
	.amdhsa_kernel _ZN2at6native30tinygemm_m16n8k16_chunk_kernelINS0_10ALayout_RMILNS0_14KReductionTypeE0EEENS0_15BLayout_TC_int4ILi8ELi256EEES4_Li8ELi8EEEvPKvS8_S8_Pviiiiii
		.amdhsa_group_segment_fixed_size 0
		.amdhsa_private_segment_fixed_size 0
		.amdhsa_kernarg_size 312
		.amdhsa_user_sgpr_count 6
		.amdhsa_user_sgpr_private_segment_buffer 1
		.amdhsa_user_sgpr_dispatch_ptr 0
		.amdhsa_user_sgpr_queue_ptr 0
		.amdhsa_user_sgpr_kernarg_segment_ptr 1
		.amdhsa_user_sgpr_dispatch_id 0
		.amdhsa_user_sgpr_flat_scratch_init 0
		.amdhsa_user_sgpr_private_segment_size 0
		.amdhsa_uses_dynamic_stack 0
		.amdhsa_system_sgpr_private_segment_wavefront_offset 0
		.amdhsa_system_sgpr_workgroup_id_x 1
		.amdhsa_system_sgpr_workgroup_id_y 0
		.amdhsa_system_sgpr_workgroup_id_z 0
		.amdhsa_system_sgpr_workgroup_info 0
		.amdhsa_system_vgpr_workitem_id 0
		.amdhsa_next_free_vgpr 32
		.amdhsa_next_free_sgpr 19
		.amdhsa_reserve_vcc 1
		.amdhsa_reserve_flat_scratch 0
		.amdhsa_float_round_mode_32 0
		.amdhsa_float_round_mode_16_64 0
		.amdhsa_float_denorm_mode_32 3
		.amdhsa_float_denorm_mode_16_64 3
		.amdhsa_dx10_clamp 1
		.amdhsa_ieee_mode 1
		.amdhsa_fp16_overflow 0
		.amdhsa_exception_fp_ieee_invalid_op 0
		.amdhsa_exception_fp_denorm_src 0
		.amdhsa_exception_fp_ieee_div_zero 0
		.amdhsa_exception_fp_ieee_overflow 0
		.amdhsa_exception_fp_ieee_underflow 0
		.amdhsa_exception_fp_ieee_inexact 0
		.amdhsa_exception_int_div_zero 0
	.end_amdhsa_kernel
	.section	.text._ZN2at6native30tinygemm_m16n8k16_chunk_kernelINS0_10ALayout_RMILNS0_14KReductionTypeE0EEENS0_15BLayout_TC_int4ILi8ELi256EEES4_Li8ELi8EEEvPKvS8_S8_Pviiiiii,"axG",@progbits,_ZN2at6native30tinygemm_m16n8k16_chunk_kernelINS0_10ALayout_RMILNS0_14KReductionTypeE0EEENS0_15BLayout_TC_int4ILi8ELi256EEES4_Li8ELi8EEEvPKvS8_S8_Pviiiiii,comdat
.Lfunc_end11:
	.size	_ZN2at6native30tinygemm_m16n8k16_chunk_kernelINS0_10ALayout_RMILNS0_14KReductionTypeE0EEENS0_15BLayout_TC_int4ILi8ELi256EEES4_Li8ELi8EEEvPKvS8_S8_Pviiiiii, .Lfunc_end11-_ZN2at6native30tinygemm_m16n8k16_chunk_kernelINS0_10ALayout_RMILNS0_14KReductionTypeE0EEENS0_15BLayout_TC_int4ILi8ELi256EEES4_Li8ELi8EEEvPKvS8_S8_Pviiiiii
                                        ; -- End function
	.set _ZN2at6native30tinygemm_m16n8k16_chunk_kernelINS0_10ALayout_RMILNS0_14KReductionTypeE0EEENS0_15BLayout_TC_int4ILi8ELi256EEES4_Li8ELi8EEEvPKvS8_S8_Pviiiiii.num_vgpr, 32
	.set _ZN2at6native30tinygemm_m16n8k16_chunk_kernelINS0_10ALayout_RMILNS0_14KReductionTypeE0EEENS0_15BLayout_TC_int4ILi8ELi256EEES4_Li8ELi8EEEvPKvS8_S8_Pviiiiii.num_agpr, 0
	.set _ZN2at6native30tinygemm_m16n8k16_chunk_kernelINS0_10ALayout_RMILNS0_14KReductionTypeE0EEENS0_15BLayout_TC_int4ILi8ELi256EEES4_Li8ELi8EEEvPKvS8_S8_Pviiiiii.numbered_sgpr, 19
	.set _ZN2at6native30tinygemm_m16n8k16_chunk_kernelINS0_10ALayout_RMILNS0_14KReductionTypeE0EEENS0_15BLayout_TC_int4ILi8ELi256EEES4_Li8ELi8EEEvPKvS8_S8_Pviiiiii.num_named_barrier, 0
	.set _ZN2at6native30tinygemm_m16n8k16_chunk_kernelINS0_10ALayout_RMILNS0_14KReductionTypeE0EEENS0_15BLayout_TC_int4ILi8ELi256EEES4_Li8ELi8EEEvPKvS8_S8_Pviiiiii.private_seg_size, 0
	.set _ZN2at6native30tinygemm_m16n8k16_chunk_kernelINS0_10ALayout_RMILNS0_14KReductionTypeE0EEENS0_15BLayout_TC_int4ILi8ELi256EEES4_Li8ELi8EEEvPKvS8_S8_Pviiiiii.uses_vcc, 1
	.set _ZN2at6native30tinygemm_m16n8k16_chunk_kernelINS0_10ALayout_RMILNS0_14KReductionTypeE0EEENS0_15BLayout_TC_int4ILi8ELi256EEES4_Li8ELi8EEEvPKvS8_S8_Pviiiiii.uses_flat_scratch, 0
	.set _ZN2at6native30tinygemm_m16n8k16_chunk_kernelINS0_10ALayout_RMILNS0_14KReductionTypeE0EEENS0_15BLayout_TC_int4ILi8ELi256EEES4_Li8ELi8EEEvPKvS8_S8_Pviiiiii.has_dyn_sized_stack, 0
	.set _ZN2at6native30tinygemm_m16n8k16_chunk_kernelINS0_10ALayout_RMILNS0_14KReductionTypeE0EEENS0_15BLayout_TC_int4ILi8ELi256EEES4_Li8ELi8EEEvPKvS8_S8_Pviiiiii.has_recursion, 0
	.set _ZN2at6native30tinygemm_m16n8k16_chunk_kernelINS0_10ALayout_RMILNS0_14KReductionTypeE0EEENS0_15BLayout_TC_int4ILi8ELi256EEES4_Li8ELi8EEEvPKvS8_S8_Pviiiiii.has_indirect_call, 0
	.section	.AMDGPU.csdata,"",@progbits
; Kernel info:
; codeLenInByte = 4752
; TotalNumSgprs: 23
; NumVgprs: 32
; ScratchSize: 0
; MemoryBound: 0
; FloatMode: 240
; IeeeMode: 1
; LDSByteSize: 0 bytes/workgroup (compile time only)
; SGPRBlocks: 2
; VGPRBlocks: 7
; NumSGPRsForWavesPerEU: 23
; NumVGPRsForWavesPerEU: 32
; Occupancy: 8
; WaveLimiterHint : 1
; COMPUTE_PGM_RSRC2:SCRATCH_EN: 0
; COMPUTE_PGM_RSRC2:USER_SGPR: 6
; COMPUTE_PGM_RSRC2:TRAP_HANDLER: 0
; COMPUTE_PGM_RSRC2:TGID_X_EN: 1
; COMPUTE_PGM_RSRC2:TGID_Y_EN: 0
; COMPUTE_PGM_RSRC2:TGID_Z_EN: 0
; COMPUTE_PGM_RSRC2:TIDIG_COMP_CNT: 0
	.section	.text._ZN2at6native31matrix_to_m16n8k16_Bint4_layoutILi2EEEvN5torch10headeronly6detail27GenericPackedTensorAccessorINS4_14TensorAccessorIN3c108ArrayRefIlEEhLm1ENS3_17RestrictPtrTraitsEiEENS_6detail16IndexBoundsCheckILm2EiEEhLm2ESA_iEENS5_INS6_IS9_iLm3ESA_iEENSD_ILm4EiEEiLm4ESA_iEE,"axG",@progbits,_ZN2at6native31matrix_to_m16n8k16_Bint4_layoutILi2EEEvN5torch10headeronly6detail27GenericPackedTensorAccessorINS4_14TensorAccessorIN3c108ArrayRefIlEEhLm1ENS3_17RestrictPtrTraitsEiEENS_6detail16IndexBoundsCheckILm2EiEEhLm2ESA_iEENS5_INS6_IS9_iLm3ESA_iEENSD_ILm4EiEEiLm4ESA_iEE,comdat
	.protected	_ZN2at6native31matrix_to_m16n8k16_Bint4_layoutILi2EEEvN5torch10headeronly6detail27GenericPackedTensorAccessorINS4_14TensorAccessorIN3c108ArrayRefIlEEhLm1ENS3_17RestrictPtrTraitsEiEENS_6detail16IndexBoundsCheckILm2EiEEhLm2ESA_iEENS5_INS6_IS9_iLm3ESA_iEENSD_ILm4EiEEiLm4ESA_iEE ; -- Begin function _ZN2at6native31matrix_to_m16n8k16_Bint4_layoutILi2EEEvN5torch10headeronly6detail27GenericPackedTensorAccessorINS4_14TensorAccessorIN3c108ArrayRefIlEEhLm1ENS3_17RestrictPtrTraitsEiEENS_6detail16IndexBoundsCheckILm2EiEEhLm2ESA_iEENS5_INS6_IS9_iLm3ESA_iEENSD_ILm4EiEEiLm4ESA_iEE
	.globl	_ZN2at6native31matrix_to_m16n8k16_Bint4_layoutILi2EEEvN5torch10headeronly6detail27GenericPackedTensorAccessorINS4_14TensorAccessorIN3c108ArrayRefIlEEhLm1ENS3_17RestrictPtrTraitsEiEENS_6detail16IndexBoundsCheckILm2EiEEhLm2ESA_iEENS5_INS6_IS9_iLm3ESA_iEENSD_ILm4EiEEiLm4ESA_iEE
	.p2align	8
	.type	_ZN2at6native31matrix_to_m16n8k16_Bint4_layoutILi2EEEvN5torch10headeronly6detail27GenericPackedTensorAccessorINS4_14TensorAccessorIN3c108ArrayRefIlEEhLm1ENS3_17RestrictPtrTraitsEiEENS_6detail16IndexBoundsCheckILm2EiEEhLm2ESA_iEENS5_INS6_IS9_iLm3ESA_iEENSD_ILm4EiEEiLm4ESA_iEE,@function
_ZN2at6native31matrix_to_m16n8k16_Bint4_layoutILi2EEEvN5torch10headeronly6detail27GenericPackedTensorAccessorINS4_14TensorAccessorIN3c108ArrayRefIlEEhLm1ENS3_17RestrictPtrTraitsEiEENS_6detail16IndexBoundsCheckILm2EiEEhLm2ESA_iEENS5_INS6_IS9_iLm3ESA_iEENSD_ILm4EiEEiLm4ESA_iEE: ; @_ZN2at6native31matrix_to_m16n8k16_Bint4_layoutILi2EEEvN5torch10headeronly6detail27GenericPackedTensorAccessorINS4_14TensorAccessorIN3c108ArrayRefIlEEhLm1ENS3_17RestrictPtrTraitsEiEENS_6detail16IndexBoundsCheckILm2EiEEhLm2ESA_iEENS5_INS6_IS9_iLm3ESA_iEENSD_ILm4EiEEiLm4ESA_iEE
; %bb.0:
	s_load_dwordx4 s[8:11], s[4:5], 0x8
	s_load_dwordx2 s[0:1], s[4:5], 0x0
	v_and_b32_e32 v1, 15, v0
	v_lshl_or_b32 v1, s7, 4, v1
	s_lshl_b32 s2, s6, 4
	s_waitcnt lgkmcnt(0)
	v_cmp_gt_u32_e32 vcc, s8, v1
	v_mul_lo_u32 v1, s10, v1
	v_lshrrev_b32_e32 v2, 3, v0
	s_and_b32 s2, s2, 0x7ffffff0
	v_and_b32_e32 v2, 0x7e, v2
	v_add_u32_e32 v5, s2, v2
	v_ashrrev_i32_e32 v2, 31, v1
	v_mov_b32_e32 v4, s1
	v_add_co_u32_e64 v3, s[0:1], s0, v1
	v_addc_co_u32_e64 v4, s[0:1], v4, v2, s[0:1]
	v_cmp_gt_i32_e64 s[0:1], s9, v5
	s_and_b64 s[0:1], vcc, s[0:1]
	v_mov_b32_e32 v1, 0
	v_ashrrev_i32_e32 v6, 31, v5
	v_mov_b32_e32 v2, 0
	s_and_saveexec_b64 s[2:3], s[0:1]
	s_cbranch_execz .LBB12_2
; %bb.1:
	v_add_co_u32_e64 v7, s[0:1], v3, v5
	v_addc_co_u32_e64 v8, s[0:1], v4, v6, s[0:1]
	global_load_ubyte v2, v[7:8], off
.LBB12_2:
	s_or_b64 exec, exec, s[2:3]
	v_or_b32_e32 v7, 1, v5
	v_cmp_gt_i32_e64 s[0:1], s9, v7
	s_and_b64 s[0:1], vcc, s[0:1]
	s_and_saveexec_b64 s[2:3], s[0:1]
	s_cbranch_execz .LBB12_4
; %bb.3:
	v_add_co_u32_e64 v7, s[0:1], v3, v5
	v_addc_co_u32_e64 v8, s[0:1], v4, v6, s[0:1]
	global_load_ubyte v1, v[7:8], off offset:1
.LBB12_4:
	s_or_b64 exec, exec, s[2:3]
	s_load_dwordx2 s[2:3], s[4:5], 0x18
	v_add_u32_e32 v7, 8, v5
	v_cmp_gt_i32_e64 s[0:1], s9, v7
	s_and_b64 s[0:1], vcc, s[0:1]
	v_mov_b32_e32 v6, 0
	v_ashrrev_i32_e32 v8, 31, v7
	v_mov_b32_e32 v5, 0
	s_and_saveexec_b64 s[10:11], s[0:1]
	s_cbranch_execz .LBB12_6
; %bb.5:
	v_add_co_u32_e64 v9, s[0:1], v3, v7
	v_addc_co_u32_e64 v10, s[0:1], v4, v8, s[0:1]
	global_load_ubyte v5, v[9:10], off
.LBB12_6:
	s_or_b64 exec, exec, s[10:11]
	s_load_dword s4, s[4:5], 0x24
	v_or_b32_e32 v9, 1, v7
	v_cmp_gt_i32_e64 s[0:1], s9, v9
	s_and_b64 s[8:9], vcc, s[0:1]
	s_and_saveexec_b64 s[0:1], s[8:9]
	s_cbranch_execz .LBB12_8
; %bb.7:
	v_add_co_u32_e32 v3, vcc, v3, v7
	v_addc_co_u32_e32 v4, vcc, v4, v8, vcc
	global_load_ubyte v6, v[3:4], off offset:1
.LBB12_8:
	s_or_b64 exec, exec, s[0:1]
	s_waitcnt lgkmcnt(0)
	s_mul_i32 s0, s4, s7
	s_add_i32 s0, s0, s6
	v_lshl_add_u32 v3, s0, 6, v0
	v_mov_b32_e32 v4, 0
	v_lshlrev_b64 v[3:4], 2, v[3:4]
	v_mov_b32_e32 v0, s3
	v_add_co_u32_e32 v3, vcc, s2, v3
	v_addc_co_u32_e32 v4, vcc, v0, v4, vcc
	s_waitcnt vmcnt(0)
	v_lshlrev_b32_e32 v0, 28, v6
	v_lshlrev_b32_e32 v7, 24, v5
	s_mov_b32 s0, 0xf000000
	v_and_or_b32 v0, v7, s0, v0
	v_lshlrev_b32_e32 v7, 20, v1
	v_lshlrev_b32_e32 v8, 16, v2
	v_and_b32_e32 v7, 0xf00000, v7
	v_and_b32_e32 v8, 0xf0000, v8
	v_lshlrev_b32_e32 v6, 8, v6
	v_lshlrev_b32_e32 v5, 4, v5
	v_or3_b32 v0, v0, v7, v8
	v_and_b32_e32 v6, 0xf000, v6
	v_and_b32_e32 v5, 0xf00, v5
	v_or3_b32 v0, v0, v6, v5
	v_and_b32_e32 v1, 0xf0, v1
	v_lshrrev_b32_e32 v2, 4, v2
	v_or3_b32 v0, v0, v1, v2
	global_store_dword v[3:4], v0, off
	s_endpgm
	.section	.rodata,"a",@progbits
	.p2align	6, 0x0
	.amdhsa_kernel _ZN2at6native31matrix_to_m16n8k16_Bint4_layoutILi2EEEvN5torch10headeronly6detail27GenericPackedTensorAccessorINS4_14TensorAccessorIN3c108ArrayRefIlEEhLm1ENS3_17RestrictPtrTraitsEiEENS_6detail16IndexBoundsCheckILm2EiEEhLm2ESA_iEENS5_INS6_IS9_iLm3ESA_iEENSD_ILm4EiEEiLm4ESA_iEE
		.amdhsa_group_segment_fixed_size 0
		.amdhsa_private_segment_fixed_size 0
		.amdhsa_kernarg_size 64
		.amdhsa_user_sgpr_count 6
		.amdhsa_user_sgpr_private_segment_buffer 1
		.amdhsa_user_sgpr_dispatch_ptr 0
		.amdhsa_user_sgpr_queue_ptr 0
		.amdhsa_user_sgpr_kernarg_segment_ptr 1
		.amdhsa_user_sgpr_dispatch_id 0
		.amdhsa_user_sgpr_flat_scratch_init 0
		.amdhsa_user_sgpr_private_segment_size 0
		.amdhsa_uses_dynamic_stack 0
		.amdhsa_system_sgpr_private_segment_wavefront_offset 0
		.amdhsa_system_sgpr_workgroup_id_x 1
		.amdhsa_system_sgpr_workgroup_id_y 1
		.amdhsa_system_sgpr_workgroup_id_z 0
		.amdhsa_system_sgpr_workgroup_info 0
		.amdhsa_system_vgpr_workitem_id 0
		.amdhsa_next_free_vgpr 11
		.amdhsa_next_free_sgpr 12
		.amdhsa_reserve_vcc 1
		.amdhsa_reserve_flat_scratch 0
		.amdhsa_float_round_mode_32 0
		.amdhsa_float_round_mode_16_64 0
		.amdhsa_float_denorm_mode_32 3
		.amdhsa_float_denorm_mode_16_64 3
		.amdhsa_dx10_clamp 1
		.amdhsa_ieee_mode 1
		.amdhsa_fp16_overflow 0
		.amdhsa_exception_fp_ieee_invalid_op 0
		.amdhsa_exception_fp_denorm_src 0
		.amdhsa_exception_fp_ieee_div_zero 0
		.amdhsa_exception_fp_ieee_overflow 0
		.amdhsa_exception_fp_ieee_underflow 0
		.amdhsa_exception_fp_ieee_inexact 0
		.amdhsa_exception_int_div_zero 0
	.end_amdhsa_kernel
	.section	.text._ZN2at6native31matrix_to_m16n8k16_Bint4_layoutILi2EEEvN5torch10headeronly6detail27GenericPackedTensorAccessorINS4_14TensorAccessorIN3c108ArrayRefIlEEhLm1ENS3_17RestrictPtrTraitsEiEENS_6detail16IndexBoundsCheckILm2EiEEhLm2ESA_iEENS5_INS6_IS9_iLm3ESA_iEENSD_ILm4EiEEiLm4ESA_iEE,"axG",@progbits,_ZN2at6native31matrix_to_m16n8k16_Bint4_layoutILi2EEEvN5torch10headeronly6detail27GenericPackedTensorAccessorINS4_14TensorAccessorIN3c108ArrayRefIlEEhLm1ENS3_17RestrictPtrTraitsEiEENS_6detail16IndexBoundsCheckILm2EiEEhLm2ESA_iEENS5_INS6_IS9_iLm3ESA_iEENSD_ILm4EiEEiLm4ESA_iEE,comdat
.Lfunc_end12:
	.size	_ZN2at6native31matrix_to_m16n8k16_Bint4_layoutILi2EEEvN5torch10headeronly6detail27GenericPackedTensorAccessorINS4_14TensorAccessorIN3c108ArrayRefIlEEhLm1ENS3_17RestrictPtrTraitsEiEENS_6detail16IndexBoundsCheckILm2EiEEhLm2ESA_iEENS5_INS6_IS9_iLm3ESA_iEENSD_ILm4EiEEiLm4ESA_iEE, .Lfunc_end12-_ZN2at6native31matrix_to_m16n8k16_Bint4_layoutILi2EEEvN5torch10headeronly6detail27GenericPackedTensorAccessorINS4_14TensorAccessorIN3c108ArrayRefIlEEhLm1ENS3_17RestrictPtrTraitsEiEENS_6detail16IndexBoundsCheckILm2EiEEhLm2ESA_iEENS5_INS6_IS9_iLm3ESA_iEENSD_ILm4EiEEiLm4ESA_iEE
                                        ; -- End function
	.set _ZN2at6native31matrix_to_m16n8k16_Bint4_layoutILi2EEEvN5torch10headeronly6detail27GenericPackedTensorAccessorINS4_14TensorAccessorIN3c108ArrayRefIlEEhLm1ENS3_17RestrictPtrTraitsEiEENS_6detail16IndexBoundsCheckILm2EiEEhLm2ESA_iEENS5_INS6_IS9_iLm3ESA_iEENSD_ILm4EiEEiLm4ESA_iEE.num_vgpr, 11
	.set _ZN2at6native31matrix_to_m16n8k16_Bint4_layoutILi2EEEvN5torch10headeronly6detail27GenericPackedTensorAccessorINS4_14TensorAccessorIN3c108ArrayRefIlEEhLm1ENS3_17RestrictPtrTraitsEiEENS_6detail16IndexBoundsCheckILm2EiEEhLm2ESA_iEENS5_INS6_IS9_iLm3ESA_iEENSD_ILm4EiEEiLm4ESA_iEE.num_agpr, 0
	.set _ZN2at6native31matrix_to_m16n8k16_Bint4_layoutILi2EEEvN5torch10headeronly6detail27GenericPackedTensorAccessorINS4_14TensorAccessorIN3c108ArrayRefIlEEhLm1ENS3_17RestrictPtrTraitsEiEENS_6detail16IndexBoundsCheckILm2EiEEhLm2ESA_iEENS5_INS6_IS9_iLm3ESA_iEENSD_ILm4EiEEiLm4ESA_iEE.numbered_sgpr, 12
	.set _ZN2at6native31matrix_to_m16n8k16_Bint4_layoutILi2EEEvN5torch10headeronly6detail27GenericPackedTensorAccessorINS4_14TensorAccessorIN3c108ArrayRefIlEEhLm1ENS3_17RestrictPtrTraitsEiEENS_6detail16IndexBoundsCheckILm2EiEEhLm2ESA_iEENS5_INS6_IS9_iLm3ESA_iEENSD_ILm4EiEEiLm4ESA_iEE.num_named_barrier, 0
	.set _ZN2at6native31matrix_to_m16n8k16_Bint4_layoutILi2EEEvN5torch10headeronly6detail27GenericPackedTensorAccessorINS4_14TensorAccessorIN3c108ArrayRefIlEEhLm1ENS3_17RestrictPtrTraitsEiEENS_6detail16IndexBoundsCheckILm2EiEEhLm2ESA_iEENS5_INS6_IS9_iLm3ESA_iEENSD_ILm4EiEEiLm4ESA_iEE.private_seg_size, 0
	.set _ZN2at6native31matrix_to_m16n8k16_Bint4_layoutILi2EEEvN5torch10headeronly6detail27GenericPackedTensorAccessorINS4_14TensorAccessorIN3c108ArrayRefIlEEhLm1ENS3_17RestrictPtrTraitsEiEENS_6detail16IndexBoundsCheckILm2EiEEhLm2ESA_iEENS5_INS6_IS9_iLm3ESA_iEENSD_ILm4EiEEiLm4ESA_iEE.uses_vcc, 1
	.set _ZN2at6native31matrix_to_m16n8k16_Bint4_layoutILi2EEEvN5torch10headeronly6detail27GenericPackedTensorAccessorINS4_14TensorAccessorIN3c108ArrayRefIlEEhLm1ENS3_17RestrictPtrTraitsEiEENS_6detail16IndexBoundsCheckILm2EiEEhLm2ESA_iEENS5_INS6_IS9_iLm3ESA_iEENSD_ILm4EiEEiLm4ESA_iEE.uses_flat_scratch, 0
	.set _ZN2at6native31matrix_to_m16n8k16_Bint4_layoutILi2EEEvN5torch10headeronly6detail27GenericPackedTensorAccessorINS4_14TensorAccessorIN3c108ArrayRefIlEEhLm1ENS3_17RestrictPtrTraitsEiEENS_6detail16IndexBoundsCheckILm2EiEEhLm2ESA_iEENS5_INS6_IS9_iLm3ESA_iEENSD_ILm4EiEEiLm4ESA_iEE.has_dyn_sized_stack, 0
	.set _ZN2at6native31matrix_to_m16n8k16_Bint4_layoutILi2EEEvN5torch10headeronly6detail27GenericPackedTensorAccessorINS4_14TensorAccessorIN3c108ArrayRefIlEEhLm1ENS3_17RestrictPtrTraitsEiEENS_6detail16IndexBoundsCheckILm2EiEEhLm2ESA_iEENS5_INS6_IS9_iLm3ESA_iEENSD_ILm4EiEEiLm4ESA_iEE.has_recursion, 0
	.set _ZN2at6native31matrix_to_m16n8k16_Bint4_layoutILi2EEEvN5torch10headeronly6detail27GenericPackedTensorAccessorINS4_14TensorAccessorIN3c108ArrayRefIlEEhLm1ENS3_17RestrictPtrTraitsEiEENS_6detail16IndexBoundsCheckILm2EiEEhLm2ESA_iEENS5_INS6_IS9_iLm3ESA_iEENSD_ILm4EiEEiLm4ESA_iEE.has_indirect_call, 0
	.section	.AMDGPU.csdata,"",@progbits
; Kernel info:
; codeLenInByte = 500
; TotalNumSgprs: 16
; NumVgprs: 11
; ScratchSize: 0
; MemoryBound: 0
; FloatMode: 240
; IeeeMode: 1
; LDSByteSize: 0 bytes/workgroup (compile time only)
; SGPRBlocks: 1
; VGPRBlocks: 2
; NumSGPRsForWavesPerEU: 16
; NumVGPRsForWavesPerEU: 11
; Occupancy: 10
; WaveLimiterHint : 0
; COMPUTE_PGM_RSRC2:SCRATCH_EN: 0
; COMPUTE_PGM_RSRC2:USER_SGPR: 6
; COMPUTE_PGM_RSRC2:TRAP_HANDLER: 0
; COMPUTE_PGM_RSRC2:TGID_X_EN: 1
; COMPUTE_PGM_RSRC2:TGID_Y_EN: 1
; COMPUTE_PGM_RSRC2:TGID_Z_EN: 0
; COMPUTE_PGM_RSRC2:TIDIG_COMP_CNT: 0
	.section	.text._ZN2at6native31matrix_to_m16n8k16_Bint4_layoutILi4EEEvN5torch10headeronly6detail27GenericPackedTensorAccessorINS4_14TensorAccessorIN3c108ArrayRefIlEEhLm1ENS3_17RestrictPtrTraitsEiEENS_6detail16IndexBoundsCheckILm2EiEEhLm2ESA_iEENS5_INS6_IS9_iLm3ESA_iEENSD_ILm4EiEEiLm4ESA_iEE,"axG",@progbits,_ZN2at6native31matrix_to_m16n8k16_Bint4_layoutILi4EEEvN5torch10headeronly6detail27GenericPackedTensorAccessorINS4_14TensorAccessorIN3c108ArrayRefIlEEhLm1ENS3_17RestrictPtrTraitsEiEENS_6detail16IndexBoundsCheckILm2EiEEhLm2ESA_iEENS5_INS6_IS9_iLm3ESA_iEENSD_ILm4EiEEiLm4ESA_iEE,comdat
	.protected	_ZN2at6native31matrix_to_m16n8k16_Bint4_layoutILi4EEEvN5torch10headeronly6detail27GenericPackedTensorAccessorINS4_14TensorAccessorIN3c108ArrayRefIlEEhLm1ENS3_17RestrictPtrTraitsEiEENS_6detail16IndexBoundsCheckILm2EiEEhLm2ESA_iEENS5_INS6_IS9_iLm3ESA_iEENSD_ILm4EiEEiLm4ESA_iEE ; -- Begin function _ZN2at6native31matrix_to_m16n8k16_Bint4_layoutILi4EEEvN5torch10headeronly6detail27GenericPackedTensorAccessorINS4_14TensorAccessorIN3c108ArrayRefIlEEhLm1ENS3_17RestrictPtrTraitsEiEENS_6detail16IndexBoundsCheckILm2EiEEhLm2ESA_iEENS5_INS6_IS9_iLm3ESA_iEENSD_ILm4EiEEiLm4ESA_iEE
	.globl	_ZN2at6native31matrix_to_m16n8k16_Bint4_layoutILi4EEEvN5torch10headeronly6detail27GenericPackedTensorAccessorINS4_14TensorAccessorIN3c108ArrayRefIlEEhLm1ENS3_17RestrictPtrTraitsEiEENS_6detail16IndexBoundsCheckILm2EiEEhLm2ESA_iEENS5_INS6_IS9_iLm3ESA_iEENSD_ILm4EiEEiLm4ESA_iEE
	.p2align	8
	.type	_ZN2at6native31matrix_to_m16n8k16_Bint4_layoutILi4EEEvN5torch10headeronly6detail27GenericPackedTensorAccessorINS4_14TensorAccessorIN3c108ArrayRefIlEEhLm1ENS3_17RestrictPtrTraitsEiEENS_6detail16IndexBoundsCheckILm2EiEEhLm2ESA_iEENS5_INS6_IS9_iLm3ESA_iEENSD_ILm4EiEEiLm4ESA_iEE,@function
_ZN2at6native31matrix_to_m16n8k16_Bint4_layoutILi4EEEvN5torch10headeronly6detail27GenericPackedTensorAccessorINS4_14TensorAccessorIN3c108ArrayRefIlEEhLm1ENS3_17RestrictPtrTraitsEiEENS_6detail16IndexBoundsCheckILm2EiEEhLm2ESA_iEENS5_INS6_IS9_iLm3ESA_iEENSD_ILm4EiEEiLm4ESA_iEE: ; @_ZN2at6native31matrix_to_m16n8k16_Bint4_layoutILi4EEEvN5torch10headeronly6detail27GenericPackedTensorAccessorINS4_14TensorAccessorIN3c108ArrayRefIlEEhLm1ENS3_17RestrictPtrTraitsEiEENS_6detail16IndexBoundsCheckILm2EiEEhLm2ESA_iEENS5_INS6_IS9_iLm3ESA_iEENSD_ILm4EiEEiLm4ESA_iEE
; %bb.0:
	s_load_dwordx4 s[8:11], s[4:5], 0x8
	s_load_dwordx2 s[0:1], s[4:5], 0x0
	v_and_b32_e32 v1, 15, v0
	v_lshl_or_b32 v1, s7, 4, v1
	s_waitcnt lgkmcnt(0)
	v_mul_lo_u32 v2, s10, v1
	v_mov_b32_e32 v5, s1
	v_cmp_gt_u32_e32 vcc, s8, v1
	v_lshrrev_b32_e32 v1, 3, v0
	v_ashrrev_i32_e32 v3, 31, v2
	v_add_co_u32_e64 v4, s[0:1], s0, v2
	v_addc_co_u32_e64 v5, s[0:1], v5, v3, s[0:1]
	s_lshl_b32 s0, s6, 5
	v_and_b32_e32 v1, 0x7e, v1
	s_and_b32 s0, s0, 0x7fffffe0
	v_add_u32_e32 v6, s0, v1
	v_cmp_gt_i32_e64 s[0:1], s9, v6
	s_and_b64 s[0:1], vcc, s[0:1]
	v_mov_b32_e32 v1, 0
	v_ashrrev_i32_e32 v3, 31, v6
	v_mov_b32_e32 v2, 0
	s_and_saveexec_b64 s[2:3], s[0:1]
	s_cbranch_execz .LBB13_2
; %bb.1:
	v_add_co_u32_e64 v7, s[0:1], v4, v6
	v_addc_co_u32_e64 v8, s[0:1], v5, v3, s[0:1]
	global_load_ubyte v2, v[7:8], off
.LBB13_2:
	s_or_b64 exec, exec, s[2:3]
	v_or_b32_e32 v7, 1, v6
	v_cmp_gt_i32_e64 s[0:1], s9, v7
	s_and_b64 s[0:1], vcc, s[0:1]
	s_and_saveexec_b64 s[2:3], s[0:1]
	s_cbranch_execz .LBB13_4
; %bb.3:
	v_add_co_u32_e64 v7, s[0:1], v4, v6
	v_addc_co_u32_e64 v8, s[0:1], v5, v3, s[0:1]
	global_load_ubyte v1, v[7:8], off offset:1
.LBB13_4:
	s_or_b64 exec, exec, s[2:3]
	s_load_dwordx2 s[2:3], s[4:5], 0x18
	v_add_u32_e32 v8, 8, v6
	v_cmp_gt_i32_e64 s[0:1], s9, v8
	s_and_b64 s[0:1], vcc, s[0:1]
	v_mov_b32_e32 v7, 0
	v_ashrrev_i32_e32 v9, 31, v8
	v_mov_b32_e32 v3, 0
	s_and_saveexec_b64 s[10:11], s[0:1]
	s_cbranch_execz .LBB13_6
; %bb.5:
	v_add_co_u32_e64 v10, s[0:1], v4, v8
	v_addc_co_u32_e64 v11, s[0:1], v5, v9, s[0:1]
	global_load_ubyte v3, v[10:11], off
.LBB13_6:
	s_or_b64 exec, exec, s[10:11]
	s_load_dword s8, s[4:5], 0x24
	v_or_b32_e32 v10, 1, v8
	v_cmp_gt_i32_e64 s[0:1], s9, v10
	s_and_b64 s[0:1], vcc, s[0:1]
	s_and_saveexec_b64 s[4:5], s[0:1]
	s_cbranch_execz .LBB13_8
; %bb.7:
	v_add_co_u32_e64 v7, s[0:1], v4, v8
	v_addc_co_u32_e64 v8, s[0:1], v5, v9, s[0:1]
	global_load_ubyte v7, v[7:8], off offset:1
.LBB13_8:
	s_or_b64 exec, exec, s[4:5]
	s_waitcnt lgkmcnt(0)
	s_mul_i32 s0, s8, s7
	s_add_i32 s0, s0, s6
	v_lshlrev_b32_e32 v0, 1, v0
	v_lshl_add_u32 v0, s0, 7, v0
	s_waitcnt vmcnt(0)
	v_lshlrev_b32_e32 v8, 28, v7
	v_lshlrev_b32_e32 v9, 24, v3
	s_mov_b32 s0, 0xf000000
	v_and_or_b32 v8, v9, s0, v8
	v_lshlrev_b32_e32 v9, 20, v1
	v_lshlrev_b32_e32 v10, 16, v2
	v_and_b32_e32 v9, 0xf00000, v9
	v_and_b32_e32 v10, 0xf0000, v10
	v_lshlrev_b32_e32 v7, 8, v7
	v_lshlrev_b32_e32 v3, 4, v3
	v_or3_b32 v8, v8, v9, v10
	v_and_b32_e32 v7, 0xf000, v7
	v_and_b32_e32 v3, 0xf00, v3
	v_or3_b32 v3, v8, v7, v3
	v_and_b32_e32 v1, 0xf0, v1
	v_lshrrev_b32_e32 v2, 4, v2
	v_or3_b32 v7, v3, v1, v2
	v_mov_b32_e32 v1, 0
	v_lshlrev_b64 v[2:3], 2, v[0:1]
	v_mov_b32_e32 v0, s3
	v_add_co_u32_e64 v2, s[0:1], s2, v2
	v_addc_co_u32_e64 v3, s[0:1], v0, v3, s[0:1]
	global_store_dword v[2:3], v7, off
	v_add_u32_e32 v7, 16, v6
	v_cmp_gt_i32_e64 s[0:1], s9, v7
	s_and_b64 s[0:1], vcc, s[0:1]
	v_ashrrev_i32_e32 v8, 31, v7
	v_mov_b32_e32 v0, 0
	s_and_saveexec_b64 s[2:3], s[0:1]
	s_cbranch_execz .LBB13_10
; %bb.9:
	v_add_co_u32_e64 v9, s[0:1], v4, v7
	v_addc_co_u32_e64 v10, s[0:1], v5, v8, s[0:1]
	global_load_ubyte v0, v[9:10], off
.LBB13_10:
	s_or_b64 exec, exec, s[2:3]
	v_or_b32_e32 v9, 1, v7
	v_cmp_gt_i32_e64 s[0:1], s9, v9
	s_and_b64 s[0:1], vcc, s[0:1]
	s_and_saveexec_b64 s[2:3], s[0:1]
	s_cbranch_execz .LBB13_12
; %bb.11:
	v_add_co_u32_e64 v7, s[0:1], v4, v7
	v_addc_co_u32_e64 v8, s[0:1], v5, v8, s[0:1]
	global_load_ubyte v1, v[7:8], off offset:1
.LBB13_12:
	s_or_b64 exec, exec, s[2:3]
	v_add_u32_e32 v8, 24, v6
	v_cmp_gt_i32_e64 s[0:1], s9, v8
	s_and_b64 s[0:1], vcc, s[0:1]
	v_mov_b32_e32 v7, 0
	v_ashrrev_i32_e32 v9, 31, v8
	v_mov_b32_e32 v6, 0
	s_and_saveexec_b64 s[2:3], s[0:1]
	s_cbranch_execz .LBB13_14
; %bb.13:
	v_add_co_u32_e64 v10, s[0:1], v4, v8
	v_addc_co_u32_e64 v11, s[0:1], v5, v9, s[0:1]
	global_load_ubyte v6, v[10:11], off
.LBB13_14:
	s_or_b64 exec, exec, s[2:3]
	v_or_b32_e32 v10, 1, v8
	v_cmp_gt_i32_e64 s[0:1], s9, v10
	s_and_b64 s[2:3], vcc, s[0:1]
	s_and_saveexec_b64 s[0:1], s[2:3]
	s_cbranch_execz .LBB13_16
; %bb.15:
	v_add_co_u32_e32 v4, vcc, v4, v8
	v_addc_co_u32_e32 v5, vcc, v5, v9, vcc
	global_load_ubyte v7, v[4:5], off offset:1
.LBB13_16:
	s_or_b64 exec, exec, s[0:1]
	s_waitcnt vmcnt(0)
	v_lshlrev_b32_e32 v4, 28, v7
	v_lshlrev_b32_e32 v5, 24, v6
	s_mov_b32 s0, 0xf000000
	v_and_or_b32 v4, v5, s0, v4
	v_lshlrev_b32_e32 v5, 20, v1
	v_lshlrev_b32_e32 v8, 16, v0
	v_and_b32_e32 v5, 0xf00000, v5
	v_and_b32_e32 v8, 0xf0000, v8
	v_or3_b32 v4, v4, v5, v8
	v_lshlrev_b32_e32 v5, 8, v7
	v_lshlrev_b32_e32 v6, 4, v6
	v_and_b32_e32 v5, 0xf000, v5
	v_and_b32_e32 v6, 0xf00, v6
	v_or3_b32 v4, v4, v5, v6
	v_and_b32_e32 v1, 0xf0, v1
	v_lshrrev_b32_e32 v0, 4, v0
	v_or3_b32 v0, v4, v1, v0
	global_store_dword v[2:3], v0, off offset:4
	s_endpgm
	.section	.rodata,"a",@progbits
	.p2align	6, 0x0
	.amdhsa_kernel _ZN2at6native31matrix_to_m16n8k16_Bint4_layoutILi4EEEvN5torch10headeronly6detail27GenericPackedTensorAccessorINS4_14TensorAccessorIN3c108ArrayRefIlEEhLm1ENS3_17RestrictPtrTraitsEiEENS_6detail16IndexBoundsCheckILm2EiEEhLm2ESA_iEENS5_INS6_IS9_iLm3ESA_iEENSD_ILm4EiEEiLm4ESA_iEE
		.amdhsa_group_segment_fixed_size 0
		.amdhsa_private_segment_fixed_size 0
		.amdhsa_kernarg_size 64
		.amdhsa_user_sgpr_count 6
		.amdhsa_user_sgpr_private_segment_buffer 1
		.amdhsa_user_sgpr_dispatch_ptr 0
		.amdhsa_user_sgpr_queue_ptr 0
		.amdhsa_user_sgpr_kernarg_segment_ptr 1
		.amdhsa_user_sgpr_dispatch_id 0
		.amdhsa_user_sgpr_flat_scratch_init 0
		.amdhsa_user_sgpr_private_segment_size 0
		.amdhsa_uses_dynamic_stack 0
		.amdhsa_system_sgpr_private_segment_wavefront_offset 0
		.amdhsa_system_sgpr_workgroup_id_x 1
		.amdhsa_system_sgpr_workgroup_id_y 1
		.amdhsa_system_sgpr_workgroup_id_z 0
		.amdhsa_system_sgpr_workgroup_info 0
		.amdhsa_system_vgpr_workitem_id 0
		.amdhsa_next_free_vgpr 12
		.amdhsa_next_free_sgpr 12
		.amdhsa_reserve_vcc 1
		.amdhsa_reserve_flat_scratch 0
		.amdhsa_float_round_mode_32 0
		.amdhsa_float_round_mode_16_64 0
		.amdhsa_float_denorm_mode_32 3
		.amdhsa_float_denorm_mode_16_64 3
		.amdhsa_dx10_clamp 1
		.amdhsa_ieee_mode 1
		.amdhsa_fp16_overflow 0
		.amdhsa_exception_fp_ieee_invalid_op 0
		.amdhsa_exception_fp_denorm_src 0
		.amdhsa_exception_fp_ieee_div_zero 0
		.amdhsa_exception_fp_ieee_overflow 0
		.amdhsa_exception_fp_ieee_underflow 0
		.amdhsa_exception_fp_ieee_inexact 0
		.amdhsa_exception_int_div_zero 0
	.end_amdhsa_kernel
	.section	.text._ZN2at6native31matrix_to_m16n8k16_Bint4_layoutILi4EEEvN5torch10headeronly6detail27GenericPackedTensorAccessorINS4_14TensorAccessorIN3c108ArrayRefIlEEhLm1ENS3_17RestrictPtrTraitsEiEENS_6detail16IndexBoundsCheckILm2EiEEhLm2ESA_iEENS5_INS6_IS9_iLm3ESA_iEENSD_ILm4EiEEiLm4ESA_iEE,"axG",@progbits,_ZN2at6native31matrix_to_m16n8k16_Bint4_layoutILi4EEEvN5torch10headeronly6detail27GenericPackedTensorAccessorINS4_14TensorAccessorIN3c108ArrayRefIlEEhLm1ENS3_17RestrictPtrTraitsEiEENS_6detail16IndexBoundsCheckILm2EiEEhLm2ESA_iEENS5_INS6_IS9_iLm3ESA_iEENSD_ILm4EiEEiLm4ESA_iEE,comdat
.Lfunc_end13:
	.size	_ZN2at6native31matrix_to_m16n8k16_Bint4_layoutILi4EEEvN5torch10headeronly6detail27GenericPackedTensorAccessorINS4_14TensorAccessorIN3c108ArrayRefIlEEhLm1ENS3_17RestrictPtrTraitsEiEENS_6detail16IndexBoundsCheckILm2EiEEhLm2ESA_iEENS5_INS6_IS9_iLm3ESA_iEENSD_ILm4EiEEiLm4ESA_iEE, .Lfunc_end13-_ZN2at6native31matrix_to_m16n8k16_Bint4_layoutILi4EEEvN5torch10headeronly6detail27GenericPackedTensorAccessorINS4_14TensorAccessorIN3c108ArrayRefIlEEhLm1ENS3_17RestrictPtrTraitsEiEENS_6detail16IndexBoundsCheckILm2EiEEhLm2ESA_iEENS5_INS6_IS9_iLm3ESA_iEENSD_ILm4EiEEiLm4ESA_iEE
                                        ; -- End function
	.set _ZN2at6native31matrix_to_m16n8k16_Bint4_layoutILi4EEEvN5torch10headeronly6detail27GenericPackedTensorAccessorINS4_14TensorAccessorIN3c108ArrayRefIlEEhLm1ENS3_17RestrictPtrTraitsEiEENS_6detail16IndexBoundsCheckILm2EiEEhLm2ESA_iEENS5_INS6_IS9_iLm3ESA_iEENSD_ILm4EiEEiLm4ESA_iEE.num_vgpr, 12
	.set _ZN2at6native31matrix_to_m16n8k16_Bint4_layoutILi4EEEvN5torch10headeronly6detail27GenericPackedTensorAccessorINS4_14TensorAccessorIN3c108ArrayRefIlEEhLm1ENS3_17RestrictPtrTraitsEiEENS_6detail16IndexBoundsCheckILm2EiEEhLm2ESA_iEENS5_INS6_IS9_iLm3ESA_iEENSD_ILm4EiEEiLm4ESA_iEE.num_agpr, 0
	.set _ZN2at6native31matrix_to_m16n8k16_Bint4_layoutILi4EEEvN5torch10headeronly6detail27GenericPackedTensorAccessorINS4_14TensorAccessorIN3c108ArrayRefIlEEhLm1ENS3_17RestrictPtrTraitsEiEENS_6detail16IndexBoundsCheckILm2EiEEhLm2ESA_iEENS5_INS6_IS9_iLm3ESA_iEENSD_ILm4EiEEiLm4ESA_iEE.numbered_sgpr, 12
	.set _ZN2at6native31matrix_to_m16n8k16_Bint4_layoutILi4EEEvN5torch10headeronly6detail27GenericPackedTensorAccessorINS4_14TensorAccessorIN3c108ArrayRefIlEEhLm1ENS3_17RestrictPtrTraitsEiEENS_6detail16IndexBoundsCheckILm2EiEEhLm2ESA_iEENS5_INS6_IS9_iLm3ESA_iEENSD_ILm4EiEEiLm4ESA_iEE.num_named_barrier, 0
	.set _ZN2at6native31matrix_to_m16n8k16_Bint4_layoutILi4EEEvN5torch10headeronly6detail27GenericPackedTensorAccessorINS4_14TensorAccessorIN3c108ArrayRefIlEEhLm1ENS3_17RestrictPtrTraitsEiEENS_6detail16IndexBoundsCheckILm2EiEEhLm2ESA_iEENS5_INS6_IS9_iLm3ESA_iEENSD_ILm4EiEEiLm4ESA_iEE.private_seg_size, 0
	.set _ZN2at6native31matrix_to_m16n8k16_Bint4_layoutILi4EEEvN5torch10headeronly6detail27GenericPackedTensorAccessorINS4_14TensorAccessorIN3c108ArrayRefIlEEhLm1ENS3_17RestrictPtrTraitsEiEENS_6detail16IndexBoundsCheckILm2EiEEhLm2ESA_iEENS5_INS6_IS9_iLm3ESA_iEENSD_ILm4EiEEiLm4ESA_iEE.uses_vcc, 1
	.set _ZN2at6native31matrix_to_m16n8k16_Bint4_layoutILi4EEEvN5torch10headeronly6detail27GenericPackedTensorAccessorINS4_14TensorAccessorIN3c108ArrayRefIlEEhLm1ENS3_17RestrictPtrTraitsEiEENS_6detail16IndexBoundsCheckILm2EiEEhLm2ESA_iEENS5_INS6_IS9_iLm3ESA_iEENSD_ILm4EiEEiLm4ESA_iEE.uses_flat_scratch, 0
	.set _ZN2at6native31matrix_to_m16n8k16_Bint4_layoutILi4EEEvN5torch10headeronly6detail27GenericPackedTensorAccessorINS4_14TensorAccessorIN3c108ArrayRefIlEEhLm1ENS3_17RestrictPtrTraitsEiEENS_6detail16IndexBoundsCheckILm2EiEEhLm2ESA_iEENS5_INS6_IS9_iLm3ESA_iEENSD_ILm4EiEEiLm4ESA_iEE.has_dyn_sized_stack, 0
	.set _ZN2at6native31matrix_to_m16n8k16_Bint4_layoutILi4EEEvN5torch10headeronly6detail27GenericPackedTensorAccessorINS4_14TensorAccessorIN3c108ArrayRefIlEEhLm1ENS3_17RestrictPtrTraitsEiEENS_6detail16IndexBoundsCheckILm2EiEEhLm2ESA_iEENS5_INS6_IS9_iLm3ESA_iEENSD_ILm4EiEEiLm4ESA_iEE.has_recursion, 0
	.set _ZN2at6native31matrix_to_m16n8k16_Bint4_layoutILi4EEEvN5torch10headeronly6detail27GenericPackedTensorAccessorINS4_14TensorAccessorIN3c108ArrayRefIlEEhLm1ENS3_17RestrictPtrTraitsEiEENS_6detail16IndexBoundsCheckILm2EiEEhLm2ESA_iEENS5_INS6_IS9_iLm3ESA_iEENSD_ILm4EiEEiLm4ESA_iEE.has_indirect_call, 0
	.section	.AMDGPU.csdata,"",@progbits
; Kernel info:
; codeLenInByte = 860
; TotalNumSgprs: 16
; NumVgprs: 12
; ScratchSize: 0
; MemoryBound: 0
; FloatMode: 240
; IeeeMode: 1
; LDSByteSize: 0 bytes/workgroup (compile time only)
; SGPRBlocks: 1
; VGPRBlocks: 2
; NumSGPRsForWavesPerEU: 16
; NumVGPRsForWavesPerEU: 12
; Occupancy: 10
; WaveLimiterHint : 0
; COMPUTE_PGM_RSRC2:SCRATCH_EN: 0
; COMPUTE_PGM_RSRC2:USER_SGPR: 6
; COMPUTE_PGM_RSRC2:TRAP_HANDLER: 0
; COMPUTE_PGM_RSRC2:TGID_X_EN: 1
; COMPUTE_PGM_RSRC2:TGID_Y_EN: 1
; COMPUTE_PGM_RSRC2:TGID_Z_EN: 0
; COMPUTE_PGM_RSRC2:TIDIG_COMP_CNT: 0
	.section	.text._ZN2at6native31matrix_to_m16n8k16_Bint4_layoutILi8EEEvN5torch10headeronly6detail27GenericPackedTensorAccessorINS4_14TensorAccessorIN3c108ArrayRefIlEEhLm1ENS3_17RestrictPtrTraitsEiEENS_6detail16IndexBoundsCheckILm2EiEEhLm2ESA_iEENS5_INS6_IS9_iLm3ESA_iEENSD_ILm4EiEEiLm4ESA_iEE,"axG",@progbits,_ZN2at6native31matrix_to_m16n8k16_Bint4_layoutILi8EEEvN5torch10headeronly6detail27GenericPackedTensorAccessorINS4_14TensorAccessorIN3c108ArrayRefIlEEhLm1ENS3_17RestrictPtrTraitsEiEENS_6detail16IndexBoundsCheckILm2EiEEhLm2ESA_iEENS5_INS6_IS9_iLm3ESA_iEENSD_ILm4EiEEiLm4ESA_iEE,comdat
	.protected	_ZN2at6native31matrix_to_m16n8k16_Bint4_layoutILi8EEEvN5torch10headeronly6detail27GenericPackedTensorAccessorINS4_14TensorAccessorIN3c108ArrayRefIlEEhLm1ENS3_17RestrictPtrTraitsEiEENS_6detail16IndexBoundsCheckILm2EiEEhLm2ESA_iEENS5_INS6_IS9_iLm3ESA_iEENSD_ILm4EiEEiLm4ESA_iEE ; -- Begin function _ZN2at6native31matrix_to_m16n8k16_Bint4_layoutILi8EEEvN5torch10headeronly6detail27GenericPackedTensorAccessorINS4_14TensorAccessorIN3c108ArrayRefIlEEhLm1ENS3_17RestrictPtrTraitsEiEENS_6detail16IndexBoundsCheckILm2EiEEhLm2ESA_iEENS5_INS6_IS9_iLm3ESA_iEENSD_ILm4EiEEiLm4ESA_iEE
	.globl	_ZN2at6native31matrix_to_m16n8k16_Bint4_layoutILi8EEEvN5torch10headeronly6detail27GenericPackedTensorAccessorINS4_14TensorAccessorIN3c108ArrayRefIlEEhLm1ENS3_17RestrictPtrTraitsEiEENS_6detail16IndexBoundsCheckILm2EiEEhLm2ESA_iEENS5_INS6_IS9_iLm3ESA_iEENSD_ILm4EiEEiLm4ESA_iEE
	.p2align	8
	.type	_ZN2at6native31matrix_to_m16n8k16_Bint4_layoutILi8EEEvN5torch10headeronly6detail27GenericPackedTensorAccessorINS4_14TensorAccessorIN3c108ArrayRefIlEEhLm1ENS3_17RestrictPtrTraitsEiEENS_6detail16IndexBoundsCheckILm2EiEEhLm2ESA_iEENS5_INS6_IS9_iLm3ESA_iEENSD_ILm4EiEEiLm4ESA_iEE,@function
_ZN2at6native31matrix_to_m16n8k16_Bint4_layoutILi8EEEvN5torch10headeronly6detail27GenericPackedTensorAccessorINS4_14TensorAccessorIN3c108ArrayRefIlEEhLm1ENS3_17RestrictPtrTraitsEiEENS_6detail16IndexBoundsCheckILm2EiEEhLm2ESA_iEENS5_INS6_IS9_iLm3ESA_iEENSD_ILm4EiEEiLm4ESA_iEE: ; @_ZN2at6native31matrix_to_m16n8k16_Bint4_layoutILi8EEEvN5torch10headeronly6detail27GenericPackedTensorAccessorINS4_14TensorAccessorIN3c108ArrayRefIlEEhLm1ENS3_17RestrictPtrTraitsEiEENS_6detail16IndexBoundsCheckILm2EiEEhLm2ESA_iEENS5_INS6_IS9_iLm3ESA_iEENSD_ILm4EiEEiLm4ESA_iEE
; %bb.0:
	s_load_dwordx4 s[8:11], s[4:5], 0x8
	s_load_dwordx2 s[0:1], s[4:5], 0x0
	v_and_b32_e32 v1, 15, v0
	v_lshl_or_b32 v1, s7, 4, v1
	v_mov_b32_e32 v6, 0
	s_waitcnt lgkmcnt(0)
	v_mul_lo_u32 v2, s10, v1
	v_mov_b32_e32 v5, s1
	v_cmp_gt_u32_e32 vcc, s8, v1
	v_lshrrev_b32_e32 v1, 3, v0
	v_ashrrev_i32_e32 v4, 31, v2
	v_add_co_u32_e64 v3, s[0:1], s0, v2
	v_addc_co_u32_e64 v4, s[0:1], v5, v4, s[0:1]
	s_lshl_b32 s0, s6, 6
	v_and_b32_e32 v1, 0x7e, v1
	s_and_b32 s0, s0, 0x7fffffc0
	v_add_u32_e32 v5, s0, v1
	v_cmp_gt_i32_e64 s[0:1], s9, v5
	s_and_b64 s[0:1], vcc, s[0:1]
	v_mov_b32_e32 v2, 0
	v_ashrrev_i32_e32 v1, 31, v5
	s_and_saveexec_b64 s[2:3], s[0:1]
	s_cbranch_execz .LBB14_2
; %bb.1:
	v_add_co_u32_e64 v6, s[0:1], v3, v5
	v_addc_co_u32_e64 v7, s[0:1], v4, v1, s[0:1]
	global_load_ubyte v6, v[6:7], off
.LBB14_2:
	s_or_b64 exec, exec, s[2:3]
	v_or_b32_e32 v7, 1, v5
	v_cmp_gt_i32_e64 s[0:1], s9, v7
	s_and_b64 s[0:1], vcc, s[0:1]
	s_and_saveexec_b64 s[2:3], s[0:1]
	s_cbranch_execz .LBB14_4
; %bb.3:
	v_add_co_u32_e64 v7, s[0:1], v3, v5
	v_addc_co_u32_e64 v8, s[0:1], v4, v1, s[0:1]
	global_load_ubyte v2, v[7:8], off offset:1
.LBB14_4:
	s_or_b64 exec, exec, s[2:3]
	s_load_dwordx2 s[2:3], s[4:5], 0x18
	v_add_u32_e32 v1, 8, v5
	v_cmp_gt_i32_e64 s[0:1], s9, v1
	s_and_b64 s[0:1], vcc, s[0:1]
	v_mov_b32_e32 v8, 0
	v_ashrrev_i32_e32 v9, 31, v1
	v_mov_b32_e32 v7, 0
	s_and_saveexec_b64 s[10:11], s[0:1]
	s_cbranch_execz .LBB14_6
; %bb.5:
	v_add_co_u32_e64 v10, s[0:1], v3, v1
	v_addc_co_u32_e64 v11, s[0:1], v4, v9, s[0:1]
	global_load_ubyte v7, v[10:11], off
.LBB14_6:
	s_or_b64 exec, exec, s[10:11]
	s_load_dword s8, s[4:5], 0x24
	v_or_b32_e32 v10, 1, v1
	v_cmp_gt_i32_e64 s[0:1], s9, v10
	s_and_b64 s[0:1], vcc, s[0:1]
	s_and_saveexec_b64 s[4:5], s[0:1]
	s_cbranch_execz .LBB14_8
; %bb.7:
	v_add_co_u32_e64 v8, s[0:1], v3, v1
	v_addc_co_u32_e64 v9, s[0:1], v4, v9, s[0:1]
	global_load_ubyte v8, v[8:9], off offset:1
.LBB14_8:
	s_or_b64 exec, exec, s[4:5]
	s_waitcnt lgkmcnt(0)
	s_mul_i32 s0, s8, s7
	s_add_i32 s0, s0, s6
	v_lshlrev_b32_e32 v0, 2, v0
	v_lshl_add_u32 v1, s0, 8, v0
	s_waitcnt vmcnt(0)
	v_lshlrev_b32_e32 v0, 28, v8
	v_lshlrev_b32_e32 v9, 24, v7
	s_mov_b32 s0, 0xf000000
	v_and_or_b32 v0, v9, s0, v0
	v_lshlrev_b32_e32 v9, 20, v2
	v_lshlrev_b32_e32 v10, 16, v6
	v_and_b32_e32 v9, 0xf00000, v9
	v_and_b32_e32 v10, 0xf0000, v10
	v_lshlrev_b32_e32 v8, 8, v8
	v_lshlrev_b32_e32 v7, 4, v7
	v_or3_b32 v0, v0, v9, v10
	v_and_b32_e32 v8, 0xf000, v8
	v_and_b32_e32 v7, 0xf00, v7
	v_or3_b32 v0, v0, v8, v7
	v_and_b32_e32 v2, 0xf0, v2
	v_lshrrev_b32_e32 v6, 4, v6
	v_or3_b32 v6, v0, v2, v6
	v_mov_b32_e32 v2, 0
	v_lshlrev_b64 v[0:1], 2, v[1:2]
	v_mov_b32_e32 v7, s3
	v_add_co_u32_e64 v0, s[0:1], s2, v0
	v_addc_co_u32_e64 v1, s[0:1], v7, v1, s[0:1]
	v_add_u32_e32 v7, 16, v5
	v_cmp_gt_i32_e64 s[0:1], s9, v7
	global_store_dword v[0:1], v6, off
	s_and_b64 s[0:1], vcc, s[0:1]
	v_ashrrev_i32_e32 v8, 31, v7
	v_mov_b32_e32 v6, 0
	s_and_saveexec_b64 s[2:3], s[0:1]
	s_cbranch_execz .LBB14_10
; %bb.9:
	v_add_co_u32_e64 v9, s[0:1], v3, v7
	v_addc_co_u32_e64 v10, s[0:1], v4, v8, s[0:1]
	global_load_ubyte v6, v[9:10], off
.LBB14_10:
	s_or_b64 exec, exec, s[2:3]
	v_or_b32_e32 v9, 1, v7
	v_cmp_gt_i32_e64 s[0:1], s9, v9
	s_and_b64 s[0:1], vcc, s[0:1]
	s_and_saveexec_b64 s[2:3], s[0:1]
	s_cbranch_execz .LBB14_12
; %bb.11:
	v_add_co_u32_e64 v7, s[0:1], v3, v7
	v_addc_co_u32_e64 v8, s[0:1], v4, v8, s[0:1]
	global_load_ubyte v2, v[7:8], off offset:1
.LBB14_12:
	s_or_b64 exec, exec, s[2:3]
	v_add_u32_e32 v9, 24, v5
	v_cmp_gt_i32_e64 s[0:1], s9, v9
	s_and_b64 s[0:1], vcc, s[0:1]
	v_mov_b32_e32 v8, 0
	v_ashrrev_i32_e32 v10, 31, v9
	v_mov_b32_e32 v7, 0
	s_and_saveexec_b64 s[2:3], s[0:1]
	s_cbranch_execz .LBB14_14
; %bb.13:
	v_add_co_u32_e64 v11, s[0:1], v3, v9
	v_addc_co_u32_e64 v12, s[0:1], v4, v10, s[0:1]
	global_load_ubyte v7, v[11:12], off
.LBB14_14:
	s_or_b64 exec, exec, s[2:3]
	v_or_b32_e32 v11, 1, v9
	v_cmp_gt_i32_e64 s[0:1], s9, v11
	s_and_b64 s[0:1], vcc, s[0:1]
	s_and_saveexec_b64 s[2:3], s[0:1]
	s_cbranch_execz .LBB14_16
; %bb.15:
	v_add_co_u32_e64 v8, s[0:1], v3, v9
	v_addc_co_u32_e64 v9, s[0:1], v4, v10, s[0:1]
	global_load_ubyte v8, v[8:9], off offset:1
.LBB14_16:
	s_or_b64 exec, exec, s[2:3]
	s_waitcnt vmcnt(0)
	v_lshlrev_b32_e32 v9, 28, v8
	v_lshlrev_b32_e32 v10, 24, v7
	s_mov_b32 s0, 0xf000000
	v_and_or_b32 v9, v10, s0, v9
	v_lshlrev_b32_e32 v10, 20, v2
	v_lshlrev_b32_e32 v11, 16, v6
	v_and_b32_e32 v10, 0xf00000, v10
	v_and_b32_e32 v11, 0xf0000, v11
	v_lshlrev_b32_e32 v8, 8, v8
	v_lshlrev_b32_e32 v7, 4, v7
	v_or3_b32 v9, v9, v10, v11
	v_and_b32_e32 v8, 0xf000, v8
	v_and_b32_e32 v7, 0xf00, v7
	v_or3_b32 v7, v9, v8, v7
	v_and_b32_e32 v2, 0xf0, v2
	v_lshrrev_b32_e32 v6, 4, v6
	v_or3_b32 v2, v7, v2, v6
	v_add_u32_e32 v7, 32, v5
	v_cmp_gt_i32_e64 s[0:1], s9, v7
	global_store_dword v[0:1], v2, off offset:4
	s_and_b64 s[0:1], vcc, s[0:1]
	v_mov_b32_e32 v2, 0
	v_ashrrev_i32_e32 v8, 31, v7
	v_mov_b32_e32 v6, 0
	s_and_saveexec_b64 s[2:3], s[0:1]
	s_cbranch_execz .LBB14_18
; %bb.17:
	v_add_co_u32_e64 v9, s[0:1], v3, v7
	v_addc_co_u32_e64 v10, s[0:1], v4, v8, s[0:1]
	global_load_ubyte v6, v[9:10], off
.LBB14_18:
	s_or_b64 exec, exec, s[2:3]
	v_or_b32_e32 v9, 1, v7
	v_cmp_gt_i32_e64 s[0:1], s9, v9
	s_and_b64 s[0:1], vcc, s[0:1]
	s_and_saveexec_b64 s[2:3], s[0:1]
	s_cbranch_execz .LBB14_20
; %bb.19:
	v_add_co_u32_e64 v7, s[0:1], v3, v7
	v_addc_co_u32_e64 v8, s[0:1], v4, v8, s[0:1]
	global_load_ubyte v2, v[7:8], off offset:1
.LBB14_20:
	s_or_b64 exec, exec, s[2:3]
	v_add_u32_e32 v9, 40, v5
	v_cmp_gt_i32_e64 s[0:1], s9, v9
	s_and_b64 s[0:1], vcc, s[0:1]
	v_mov_b32_e32 v8, 0
	v_ashrrev_i32_e32 v10, 31, v9
	v_mov_b32_e32 v7, 0
	s_and_saveexec_b64 s[2:3], s[0:1]
	s_cbranch_execz .LBB14_22
; %bb.21:
	v_add_co_u32_e64 v11, s[0:1], v3, v9
	v_addc_co_u32_e64 v12, s[0:1], v4, v10, s[0:1]
	global_load_ubyte v7, v[11:12], off
.LBB14_22:
	s_or_b64 exec, exec, s[2:3]
	v_or_b32_e32 v11, 1, v9
	v_cmp_gt_i32_e64 s[0:1], s9, v11
	s_and_b64 s[0:1], vcc, s[0:1]
	s_and_saveexec_b64 s[2:3], s[0:1]
	s_cbranch_execz .LBB14_24
; %bb.23:
	v_add_co_u32_e64 v8, s[0:1], v3, v9
	v_addc_co_u32_e64 v9, s[0:1], v4, v10, s[0:1]
	global_load_ubyte v8, v[8:9], off offset:1
.LBB14_24:
	s_or_b64 exec, exec, s[2:3]
	s_waitcnt vmcnt(0)
	v_lshlrev_b32_e32 v9, 28, v8
	v_lshlrev_b32_e32 v10, 24, v7
	s_mov_b32 s0, 0xf000000
	v_and_or_b32 v9, v10, s0, v9
	v_lshlrev_b32_e32 v10, 20, v2
	v_lshlrev_b32_e32 v11, 16, v6
	v_and_b32_e32 v10, 0xf00000, v10
	v_and_b32_e32 v11, 0xf0000, v11
	v_lshlrev_b32_e32 v8, 8, v8
	v_lshlrev_b32_e32 v7, 4, v7
	v_or3_b32 v9, v9, v10, v11
	v_and_b32_e32 v8, 0xf000, v8
	v_and_b32_e32 v7, 0xf00, v7
	v_or3_b32 v7, v9, v8, v7
	v_and_b32_e32 v2, 0xf0, v2
	v_lshrrev_b32_e32 v6, 4, v6
	v_or3_b32 v2, v7, v2, v6
	v_add_u32_e32 v7, 48, v5
	v_cmp_gt_i32_e64 s[0:1], s9, v7
	global_store_dword v[0:1], v2, off offset:8
	s_and_b64 s[0:1], vcc, s[0:1]
	v_mov_b32_e32 v2, 0
	v_ashrrev_i32_e32 v8, 31, v7
	v_mov_b32_e32 v6, 0
	s_and_saveexec_b64 s[2:3], s[0:1]
	s_cbranch_execz .LBB14_26
; %bb.25:
	v_add_co_u32_e64 v9, s[0:1], v3, v7
	v_addc_co_u32_e64 v10, s[0:1], v4, v8, s[0:1]
	global_load_ubyte v6, v[9:10], off
.LBB14_26:
	s_or_b64 exec, exec, s[2:3]
	v_or_b32_e32 v9, 1, v7
	v_cmp_gt_i32_e64 s[0:1], s9, v9
	s_and_b64 s[0:1], vcc, s[0:1]
	s_and_saveexec_b64 s[2:3], s[0:1]
	s_cbranch_execz .LBB14_28
; %bb.27:
	v_add_co_u32_e64 v7, s[0:1], v3, v7
	v_addc_co_u32_e64 v8, s[0:1], v4, v8, s[0:1]
	global_load_ubyte v2, v[7:8], off offset:1
.LBB14_28:
	s_or_b64 exec, exec, s[2:3]
	v_add_u32_e32 v8, 56, v5
	v_cmp_gt_i32_e64 s[0:1], s9, v8
	s_and_b64 s[0:1], vcc, s[0:1]
	v_mov_b32_e32 v7, 0
	v_ashrrev_i32_e32 v9, 31, v8
	v_mov_b32_e32 v5, 0
	s_and_saveexec_b64 s[2:3], s[0:1]
	s_cbranch_execz .LBB14_30
; %bb.29:
	v_add_co_u32_e64 v10, s[0:1], v3, v8
	v_addc_co_u32_e64 v11, s[0:1], v4, v9, s[0:1]
	global_load_ubyte v5, v[10:11], off
.LBB14_30:
	s_or_b64 exec, exec, s[2:3]
	v_or_b32_e32 v10, 1, v8
	v_cmp_gt_i32_e64 s[0:1], s9, v10
	s_and_b64 s[2:3], vcc, s[0:1]
	s_and_saveexec_b64 s[0:1], s[2:3]
	s_cbranch_execz .LBB14_32
; %bb.31:
	v_add_co_u32_e32 v3, vcc, v3, v8
	v_addc_co_u32_e32 v4, vcc, v4, v9, vcc
	global_load_ubyte v7, v[3:4], off offset:1
.LBB14_32:
	s_or_b64 exec, exec, s[0:1]
	s_waitcnt vmcnt(0)
	v_lshlrev_b32_e32 v3, 28, v7
	v_lshlrev_b32_e32 v4, 24, v5
	s_mov_b32 s0, 0xf000000
	v_and_or_b32 v3, v4, s0, v3
	v_lshlrev_b32_e32 v4, 20, v2
	v_lshlrev_b32_e32 v8, 16, v6
	v_and_b32_e32 v4, 0xf00000, v4
	v_and_b32_e32 v8, 0xf0000, v8
	v_or3_b32 v3, v3, v4, v8
	v_lshlrev_b32_e32 v4, 8, v7
	v_lshlrev_b32_e32 v5, 4, v5
	v_and_b32_e32 v4, 0xf000, v4
	v_and_b32_e32 v5, 0xf00, v5
	v_or3_b32 v3, v3, v4, v5
	v_and_b32_e32 v2, 0xf0, v2
	v_lshrrev_b32_e32 v4, 4, v6
	v_or3_b32 v2, v3, v2, v4
	global_store_dword v[0:1], v2, off offset:12
	s_endpgm
	.section	.rodata,"a",@progbits
	.p2align	6, 0x0
	.amdhsa_kernel _ZN2at6native31matrix_to_m16n8k16_Bint4_layoutILi8EEEvN5torch10headeronly6detail27GenericPackedTensorAccessorINS4_14TensorAccessorIN3c108ArrayRefIlEEhLm1ENS3_17RestrictPtrTraitsEiEENS_6detail16IndexBoundsCheckILm2EiEEhLm2ESA_iEENS5_INS6_IS9_iLm3ESA_iEENSD_ILm4EiEEiLm4ESA_iEE
		.amdhsa_group_segment_fixed_size 0
		.amdhsa_private_segment_fixed_size 0
		.amdhsa_kernarg_size 64
		.amdhsa_user_sgpr_count 6
		.amdhsa_user_sgpr_private_segment_buffer 1
		.amdhsa_user_sgpr_dispatch_ptr 0
		.amdhsa_user_sgpr_queue_ptr 0
		.amdhsa_user_sgpr_kernarg_segment_ptr 1
		.amdhsa_user_sgpr_dispatch_id 0
		.amdhsa_user_sgpr_flat_scratch_init 0
		.amdhsa_user_sgpr_private_segment_size 0
		.amdhsa_uses_dynamic_stack 0
		.amdhsa_system_sgpr_private_segment_wavefront_offset 0
		.amdhsa_system_sgpr_workgroup_id_x 1
		.amdhsa_system_sgpr_workgroup_id_y 1
		.amdhsa_system_sgpr_workgroup_id_z 0
		.amdhsa_system_sgpr_workgroup_info 0
		.amdhsa_system_vgpr_workitem_id 0
		.amdhsa_next_free_vgpr 13
		.amdhsa_next_free_sgpr 12
		.amdhsa_reserve_vcc 1
		.amdhsa_reserve_flat_scratch 0
		.amdhsa_float_round_mode_32 0
		.amdhsa_float_round_mode_16_64 0
		.amdhsa_float_denorm_mode_32 3
		.amdhsa_float_denorm_mode_16_64 3
		.amdhsa_dx10_clamp 1
		.amdhsa_ieee_mode 1
		.amdhsa_fp16_overflow 0
		.amdhsa_exception_fp_ieee_invalid_op 0
		.amdhsa_exception_fp_denorm_src 0
		.amdhsa_exception_fp_ieee_div_zero 0
		.amdhsa_exception_fp_ieee_overflow 0
		.amdhsa_exception_fp_ieee_underflow 0
		.amdhsa_exception_fp_ieee_inexact 0
		.amdhsa_exception_int_div_zero 0
	.end_amdhsa_kernel
	.section	.text._ZN2at6native31matrix_to_m16n8k16_Bint4_layoutILi8EEEvN5torch10headeronly6detail27GenericPackedTensorAccessorINS4_14TensorAccessorIN3c108ArrayRefIlEEhLm1ENS3_17RestrictPtrTraitsEiEENS_6detail16IndexBoundsCheckILm2EiEEhLm2ESA_iEENS5_INS6_IS9_iLm3ESA_iEENSD_ILm4EiEEiLm4ESA_iEE,"axG",@progbits,_ZN2at6native31matrix_to_m16n8k16_Bint4_layoutILi8EEEvN5torch10headeronly6detail27GenericPackedTensorAccessorINS4_14TensorAccessorIN3c108ArrayRefIlEEhLm1ENS3_17RestrictPtrTraitsEiEENS_6detail16IndexBoundsCheckILm2EiEEhLm2ESA_iEENS5_INS6_IS9_iLm3ESA_iEENSD_ILm4EiEEiLm4ESA_iEE,comdat
.Lfunc_end14:
	.size	_ZN2at6native31matrix_to_m16n8k16_Bint4_layoutILi8EEEvN5torch10headeronly6detail27GenericPackedTensorAccessorINS4_14TensorAccessorIN3c108ArrayRefIlEEhLm1ENS3_17RestrictPtrTraitsEiEENS_6detail16IndexBoundsCheckILm2EiEEhLm2ESA_iEENS5_INS6_IS9_iLm3ESA_iEENSD_ILm4EiEEiLm4ESA_iEE, .Lfunc_end14-_ZN2at6native31matrix_to_m16n8k16_Bint4_layoutILi8EEEvN5torch10headeronly6detail27GenericPackedTensorAccessorINS4_14TensorAccessorIN3c108ArrayRefIlEEhLm1ENS3_17RestrictPtrTraitsEiEENS_6detail16IndexBoundsCheckILm2EiEEhLm2ESA_iEENS5_INS6_IS9_iLm3ESA_iEENSD_ILm4EiEEiLm4ESA_iEE
                                        ; -- End function
	.set _ZN2at6native31matrix_to_m16n8k16_Bint4_layoutILi8EEEvN5torch10headeronly6detail27GenericPackedTensorAccessorINS4_14TensorAccessorIN3c108ArrayRefIlEEhLm1ENS3_17RestrictPtrTraitsEiEENS_6detail16IndexBoundsCheckILm2EiEEhLm2ESA_iEENS5_INS6_IS9_iLm3ESA_iEENSD_ILm4EiEEiLm4ESA_iEE.num_vgpr, 13
	.set _ZN2at6native31matrix_to_m16n8k16_Bint4_layoutILi8EEEvN5torch10headeronly6detail27GenericPackedTensorAccessorINS4_14TensorAccessorIN3c108ArrayRefIlEEhLm1ENS3_17RestrictPtrTraitsEiEENS_6detail16IndexBoundsCheckILm2EiEEhLm2ESA_iEENS5_INS6_IS9_iLm3ESA_iEENSD_ILm4EiEEiLm4ESA_iEE.num_agpr, 0
	.set _ZN2at6native31matrix_to_m16n8k16_Bint4_layoutILi8EEEvN5torch10headeronly6detail27GenericPackedTensorAccessorINS4_14TensorAccessorIN3c108ArrayRefIlEEhLm1ENS3_17RestrictPtrTraitsEiEENS_6detail16IndexBoundsCheckILm2EiEEhLm2ESA_iEENS5_INS6_IS9_iLm3ESA_iEENSD_ILm4EiEEiLm4ESA_iEE.numbered_sgpr, 12
	.set _ZN2at6native31matrix_to_m16n8k16_Bint4_layoutILi8EEEvN5torch10headeronly6detail27GenericPackedTensorAccessorINS4_14TensorAccessorIN3c108ArrayRefIlEEhLm1ENS3_17RestrictPtrTraitsEiEENS_6detail16IndexBoundsCheckILm2EiEEhLm2ESA_iEENS5_INS6_IS9_iLm3ESA_iEENSD_ILm4EiEEiLm4ESA_iEE.num_named_barrier, 0
	.set _ZN2at6native31matrix_to_m16n8k16_Bint4_layoutILi8EEEvN5torch10headeronly6detail27GenericPackedTensorAccessorINS4_14TensorAccessorIN3c108ArrayRefIlEEhLm1ENS3_17RestrictPtrTraitsEiEENS_6detail16IndexBoundsCheckILm2EiEEhLm2ESA_iEENS5_INS6_IS9_iLm3ESA_iEENSD_ILm4EiEEiLm4ESA_iEE.private_seg_size, 0
	.set _ZN2at6native31matrix_to_m16n8k16_Bint4_layoutILi8EEEvN5torch10headeronly6detail27GenericPackedTensorAccessorINS4_14TensorAccessorIN3c108ArrayRefIlEEhLm1ENS3_17RestrictPtrTraitsEiEENS_6detail16IndexBoundsCheckILm2EiEEhLm2ESA_iEENS5_INS6_IS9_iLm3ESA_iEENSD_ILm4EiEEiLm4ESA_iEE.uses_vcc, 1
	.set _ZN2at6native31matrix_to_m16n8k16_Bint4_layoutILi8EEEvN5torch10headeronly6detail27GenericPackedTensorAccessorINS4_14TensorAccessorIN3c108ArrayRefIlEEhLm1ENS3_17RestrictPtrTraitsEiEENS_6detail16IndexBoundsCheckILm2EiEEhLm2ESA_iEENS5_INS6_IS9_iLm3ESA_iEENSD_ILm4EiEEiLm4ESA_iEE.uses_flat_scratch, 0
	.set _ZN2at6native31matrix_to_m16n8k16_Bint4_layoutILi8EEEvN5torch10headeronly6detail27GenericPackedTensorAccessorINS4_14TensorAccessorIN3c108ArrayRefIlEEhLm1ENS3_17RestrictPtrTraitsEiEENS_6detail16IndexBoundsCheckILm2EiEEhLm2ESA_iEENS5_INS6_IS9_iLm3ESA_iEENSD_ILm4EiEEiLm4ESA_iEE.has_dyn_sized_stack, 0
	.set _ZN2at6native31matrix_to_m16n8k16_Bint4_layoutILi8EEEvN5torch10headeronly6detail27GenericPackedTensorAccessorINS4_14TensorAccessorIN3c108ArrayRefIlEEhLm1ENS3_17RestrictPtrTraitsEiEENS_6detail16IndexBoundsCheckILm2EiEEhLm2ESA_iEENS5_INS6_IS9_iLm3ESA_iEENSD_ILm4EiEEiLm4ESA_iEE.has_recursion, 0
	.set _ZN2at6native31matrix_to_m16n8k16_Bint4_layoutILi8EEEvN5torch10headeronly6detail27GenericPackedTensorAccessorINS4_14TensorAccessorIN3c108ArrayRefIlEEhLm1ENS3_17RestrictPtrTraitsEiEENS_6detail16IndexBoundsCheckILm2EiEEhLm2ESA_iEENS5_INS6_IS9_iLm3ESA_iEENSD_ILm4EiEEiLm4ESA_iEE.has_indirect_call, 0
	.section	.AMDGPU.csdata,"",@progbits
; Kernel info:
; codeLenInByte = 1564
; TotalNumSgprs: 16
; NumVgprs: 13
; ScratchSize: 0
; MemoryBound: 0
; FloatMode: 240
; IeeeMode: 1
; LDSByteSize: 0 bytes/workgroup (compile time only)
; SGPRBlocks: 1
; VGPRBlocks: 3
; NumSGPRsForWavesPerEU: 16
; NumVGPRsForWavesPerEU: 13
; Occupancy: 10
; WaveLimiterHint : 0
; COMPUTE_PGM_RSRC2:SCRATCH_EN: 0
; COMPUTE_PGM_RSRC2:USER_SGPR: 6
; COMPUTE_PGM_RSRC2:TRAP_HANDLER: 0
; COMPUTE_PGM_RSRC2:TGID_X_EN: 1
; COMPUTE_PGM_RSRC2:TGID_Y_EN: 1
; COMPUTE_PGM_RSRC2:TGID_Z_EN: 0
; COMPUTE_PGM_RSRC2:TIDIG_COMP_CNT: 0
	.section	.AMDGPU.gpr_maximums,"",@progbits
	.set amdgpu.max_num_vgpr, 0
	.set amdgpu.max_num_agpr, 0
	.set amdgpu.max_num_sgpr, 0
	.section	.AMDGPU.csdata,"",@progbits
	.type	.str,@object                    ; @.str
	.section	.rodata.str1.1,"aMS",@progbits,1
.str:
	.asciz	"__builtin_amdgcn_mfma_f32_16x16x16bf16_1k is only supported on AMD gpu arch greater than or equal to CDNA2\n"
	.size	.str, 108

	.type	__hip_cuid_79a8a6427f638d93,@object ; @__hip_cuid_79a8a6427f638d93
	.section	.bss,"aw",@nobits
	.globl	__hip_cuid_79a8a6427f638d93
__hip_cuid_79a8a6427f638d93:
	.byte	0                               ; 0x0
	.size	__hip_cuid_79a8a6427f638d93, 1

	.ident	"AMD clang version 22.0.0git (https://github.com/RadeonOpenCompute/llvm-project roc-7.2.4 26084 f58b06dce1f9c15707c5f808fd002e18c2accf7e)"
	.section	".note.GNU-stack","",@progbits
	.addrsig
	.addrsig_sym __hip_cuid_79a8a6427f638d93
	.amdgpu_metadata
---
amdhsa.kernels:
  - .args:
      - .actual_access:  read_only
        .address_space:  global
        .offset:         0
        .size:           8
        .value_kind:     global_buffer
      - .actual_access:  read_only
        .address_space:  global
        .offset:         8
        .size:           8
        .value_kind:     global_buffer
      - .actual_access:  read_only
        .address_space:  global
        .offset:         16
        .size:           8
        .value_kind:     global_buffer
      - .actual_access:  read_only
        .address_space:  global
        .offset:         24
        .size:           8
        .value_kind:     global_buffer
      - .offset:         32
        .size:           4
        .value_kind:     by_value
      - .offset:         36
        .size:           4
        .value_kind:     by_value
      - .offset:         40
        .size:           4
        .value_kind:     by_value
      - .offset:         44
        .size:           4
        .value_kind:     by_value
      - .offset:         48
        .size:           4
        .value_kind:     by_value
      - .offset:         52
        .size:           4
        .value_kind:     by_value
      - .offset:         56
        .size:           4
        .value_kind:     hidden_block_count_x
      - .offset:         60
        .size:           4
        .value_kind:     hidden_block_count_y
      - .offset:         64
        .size:           4
        .value_kind:     hidden_block_count_z
      - .offset:         68
        .size:           2
        .value_kind:     hidden_group_size_x
      - .offset:         70
        .size:           2
        .value_kind:     hidden_group_size_y
      - .offset:         72
        .size:           2
        .value_kind:     hidden_group_size_z
      - .offset:         74
        .size:           2
        .value_kind:     hidden_remainder_x
      - .offset:         76
        .size:           2
        .value_kind:     hidden_remainder_y
      - .offset:         78
        .size:           2
        .value_kind:     hidden_remainder_z
      - .offset:         96
        .size:           8
        .value_kind:     hidden_global_offset_x
      - .offset:         104
        .size:           8
        .value_kind:     hidden_global_offset_y
      - .offset:         112
        .size:           8
        .value_kind:     hidden_global_offset_z
      - .offset:         120
        .size:           2
        .value_kind:     hidden_grid_dims
      - .offset:         136
        .size:           8
        .value_kind:     hidden_hostcall_buffer
    .group_segment_fixed_size: 0
    .kernarg_segment_align: 8
    .kernarg_segment_size: 312
    .language:       OpenCL C
    .language_version:
      - 2
      - 0
    .max_flat_workgroup_size: 512
    .name:           _ZN2at6native30tinygemm_m16n8k16_chunk_kernelINS0_10ALayout_RMILNS0_14KReductionTypeE0EEENS0_15BLayout_TC_int4ILi2ELi32EEES4_Li8ELi8EEEvPKvS8_S8_Pviiiiii
    .private_segment_fixed_size: 0
    .sgpr_count:     23
    .sgpr_spill_count: 0
    .symbol:         _ZN2at6native30tinygemm_m16n8k16_chunk_kernelINS0_10ALayout_RMILNS0_14KReductionTypeE0EEENS0_15BLayout_TC_int4ILi2ELi32EEES4_Li8ELi8EEEvPKvS8_S8_Pviiiiii.kd
    .uniform_work_group_size: 1
    .uses_dynamic_stack: false
    .vgpr_count:     32
    .vgpr_spill_count: 0
    .wavefront_size: 64
  - .args:
      - .actual_access:  read_only
        .address_space:  global
        .offset:         0
        .size:           8
        .value_kind:     global_buffer
      - .actual_access:  read_only
        .address_space:  global
        .offset:         8
        .size:           8
        .value_kind:     global_buffer
      - .actual_access:  read_only
        .address_space:  global
        .offset:         16
        .size:           8
        .value_kind:     global_buffer
      - .actual_access:  read_only
        .address_space:  global
        .offset:         24
        .size:           8
        .value_kind:     global_buffer
      - .offset:         32
        .size:           4
        .value_kind:     by_value
      - .offset:         36
        .size:           4
        .value_kind:     by_value
      - .offset:         40
        .size:           4
        .value_kind:     by_value
      - .offset:         44
        .size:           4
        .value_kind:     by_value
      - .offset:         48
        .size:           4
        .value_kind:     by_value
      - .offset:         52
        .size:           4
        .value_kind:     by_value
      - .offset:         56
        .size:           4
        .value_kind:     hidden_block_count_x
      - .offset:         60
        .size:           4
        .value_kind:     hidden_block_count_y
      - .offset:         64
        .size:           4
        .value_kind:     hidden_block_count_z
      - .offset:         68
        .size:           2
        .value_kind:     hidden_group_size_x
      - .offset:         70
        .size:           2
        .value_kind:     hidden_group_size_y
      - .offset:         72
        .size:           2
        .value_kind:     hidden_group_size_z
      - .offset:         74
        .size:           2
        .value_kind:     hidden_remainder_x
      - .offset:         76
        .size:           2
        .value_kind:     hidden_remainder_y
      - .offset:         78
        .size:           2
        .value_kind:     hidden_remainder_z
      - .offset:         96
        .size:           8
        .value_kind:     hidden_global_offset_x
      - .offset:         104
        .size:           8
        .value_kind:     hidden_global_offset_y
      - .offset:         112
        .size:           8
        .value_kind:     hidden_global_offset_z
      - .offset:         120
        .size:           2
        .value_kind:     hidden_grid_dims
      - .offset:         136
        .size:           8
        .value_kind:     hidden_hostcall_buffer
    .group_segment_fixed_size: 0
    .kernarg_segment_align: 8
    .kernarg_segment_size: 312
    .language:       OpenCL C
    .language_version:
      - 2
      - 0
    .max_flat_workgroup_size: 512
    .name:           _ZN2at6native30tinygemm_m16n8k16_chunk_kernelINS0_10ALayout_RMILNS0_14KReductionTypeE0EEENS0_15BLayout_TC_int4ILi4ELi32EEES4_Li8ELi8EEEvPKvS8_S8_Pviiiiii
    .private_segment_fixed_size: 0
    .sgpr_count:     23
    .sgpr_spill_count: 0
    .symbol:         _ZN2at6native30tinygemm_m16n8k16_chunk_kernelINS0_10ALayout_RMILNS0_14KReductionTypeE0EEENS0_15BLayout_TC_int4ILi4ELi32EEES4_Li8ELi8EEEvPKvS8_S8_Pviiiiii.kd
    .uniform_work_group_size: 1
    .uses_dynamic_stack: false
    .vgpr_count:     32
    .vgpr_spill_count: 0
    .wavefront_size: 64
  - .args:
      - .actual_access:  read_only
        .address_space:  global
        .offset:         0
        .size:           8
        .value_kind:     global_buffer
      - .actual_access:  read_only
        .address_space:  global
        .offset:         8
        .size:           8
        .value_kind:     global_buffer
      - .actual_access:  read_only
        .address_space:  global
        .offset:         16
        .size:           8
        .value_kind:     global_buffer
      - .actual_access:  read_only
        .address_space:  global
        .offset:         24
        .size:           8
        .value_kind:     global_buffer
      - .offset:         32
        .size:           4
        .value_kind:     by_value
      - .offset:         36
        .size:           4
        .value_kind:     by_value
      - .offset:         40
        .size:           4
        .value_kind:     by_value
      - .offset:         44
        .size:           4
        .value_kind:     by_value
      - .offset:         48
        .size:           4
        .value_kind:     by_value
      - .offset:         52
        .size:           4
        .value_kind:     by_value
      - .offset:         56
        .size:           4
        .value_kind:     hidden_block_count_x
      - .offset:         60
        .size:           4
        .value_kind:     hidden_block_count_y
      - .offset:         64
        .size:           4
        .value_kind:     hidden_block_count_z
      - .offset:         68
        .size:           2
        .value_kind:     hidden_group_size_x
      - .offset:         70
        .size:           2
        .value_kind:     hidden_group_size_y
      - .offset:         72
        .size:           2
        .value_kind:     hidden_group_size_z
      - .offset:         74
        .size:           2
        .value_kind:     hidden_remainder_x
      - .offset:         76
        .size:           2
        .value_kind:     hidden_remainder_y
      - .offset:         78
        .size:           2
        .value_kind:     hidden_remainder_z
      - .offset:         96
        .size:           8
        .value_kind:     hidden_global_offset_x
      - .offset:         104
        .size:           8
        .value_kind:     hidden_global_offset_y
      - .offset:         112
        .size:           8
        .value_kind:     hidden_global_offset_z
      - .offset:         120
        .size:           2
        .value_kind:     hidden_grid_dims
      - .offset:         136
        .size:           8
        .value_kind:     hidden_hostcall_buffer
    .group_segment_fixed_size: 0
    .kernarg_segment_align: 8
    .kernarg_segment_size: 312
    .language:       OpenCL C
    .language_version:
      - 2
      - 0
    .max_flat_workgroup_size: 512
    .name:           _ZN2at6native30tinygemm_m16n8k16_chunk_kernelINS0_10ALayout_RMILNS0_14KReductionTypeE0EEENS0_15BLayout_TC_int4ILi8ELi32EEES4_Li8ELi8EEEvPKvS8_S8_Pviiiiii
    .private_segment_fixed_size: 0
    .sgpr_count:     23
    .sgpr_spill_count: 0
    .symbol:         _ZN2at6native30tinygemm_m16n8k16_chunk_kernelINS0_10ALayout_RMILNS0_14KReductionTypeE0EEENS0_15BLayout_TC_int4ILi8ELi32EEES4_Li8ELi8EEEvPKvS8_S8_Pviiiiii.kd
    .uniform_work_group_size: 1
    .uses_dynamic_stack: false
    .vgpr_count:     32
    .vgpr_spill_count: 0
    .wavefront_size: 64
  - .args:
      - .actual_access:  read_only
        .address_space:  global
        .offset:         0
        .size:           8
        .value_kind:     global_buffer
      - .actual_access:  read_only
        .address_space:  global
        .offset:         8
        .size:           8
        .value_kind:     global_buffer
      - .actual_access:  read_only
        .address_space:  global
        .offset:         16
        .size:           8
        .value_kind:     global_buffer
      - .actual_access:  read_only
        .address_space:  global
        .offset:         24
        .size:           8
        .value_kind:     global_buffer
      - .offset:         32
        .size:           4
        .value_kind:     by_value
      - .offset:         36
        .size:           4
        .value_kind:     by_value
      - .offset:         40
        .size:           4
        .value_kind:     by_value
      - .offset:         44
        .size:           4
        .value_kind:     by_value
      - .offset:         48
        .size:           4
        .value_kind:     by_value
      - .offset:         52
        .size:           4
        .value_kind:     by_value
      - .offset:         56
        .size:           4
        .value_kind:     hidden_block_count_x
      - .offset:         60
        .size:           4
        .value_kind:     hidden_block_count_y
      - .offset:         64
        .size:           4
        .value_kind:     hidden_block_count_z
      - .offset:         68
        .size:           2
        .value_kind:     hidden_group_size_x
      - .offset:         70
        .size:           2
        .value_kind:     hidden_group_size_y
      - .offset:         72
        .size:           2
        .value_kind:     hidden_group_size_z
      - .offset:         74
        .size:           2
        .value_kind:     hidden_remainder_x
      - .offset:         76
        .size:           2
        .value_kind:     hidden_remainder_y
      - .offset:         78
        .size:           2
        .value_kind:     hidden_remainder_z
      - .offset:         96
        .size:           8
        .value_kind:     hidden_global_offset_x
      - .offset:         104
        .size:           8
        .value_kind:     hidden_global_offset_y
      - .offset:         112
        .size:           8
        .value_kind:     hidden_global_offset_z
      - .offset:         120
        .size:           2
        .value_kind:     hidden_grid_dims
      - .offset:         136
        .size:           8
        .value_kind:     hidden_hostcall_buffer
    .group_segment_fixed_size: 0
    .kernarg_segment_align: 8
    .kernarg_segment_size: 312
    .language:       OpenCL C
    .language_version:
      - 2
      - 0
    .max_flat_workgroup_size: 512
    .name:           _ZN2at6native30tinygemm_m16n8k16_chunk_kernelINS0_10ALayout_RMILNS0_14KReductionTypeE0EEENS0_15BLayout_TC_int4ILi2ELi64EEES4_Li8ELi8EEEvPKvS8_S8_Pviiiiii
    .private_segment_fixed_size: 0
    .sgpr_count:     23
    .sgpr_spill_count: 0
    .symbol:         _ZN2at6native30tinygemm_m16n8k16_chunk_kernelINS0_10ALayout_RMILNS0_14KReductionTypeE0EEENS0_15BLayout_TC_int4ILi2ELi64EEES4_Li8ELi8EEEvPKvS8_S8_Pviiiiii.kd
    .uniform_work_group_size: 1
    .uses_dynamic_stack: false
    .vgpr_count:     32
    .vgpr_spill_count: 0
    .wavefront_size: 64
  - .args:
      - .actual_access:  read_only
        .address_space:  global
        .offset:         0
        .size:           8
        .value_kind:     global_buffer
      - .actual_access:  read_only
        .address_space:  global
        .offset:         8
        .size:           8
        .value_kind:     global_buffer
      - .actual_access:  read_only
        .address_space:  global
        .offset:         16
        .size:           8
        .value_kind:     global_buffer
      - .actual_access:  read_only
        .address_space:  global
        .offset:         24
        .size:           8
        .value_kind:     global_buffer
      - .offset:         32
        .size:           4
        .value_kind:     by_value
      - .offset:         36
        .size:           4
        .value_kind:     by_value
      - .offset:         40
        .size:           4
        .value_kind:     by_value
      - .offset:         44
        .size:           4
        .value_kind:     by_value
      - .offset:         48
        .size:           4
        .value_kind:     by_value
      - .offset:         52
        .size:           4
        .value_kind:     by_value
      - .offset:         56
        .size:           4
        .value_kind:     hidden_block_count_x
      - .offset:         60
        .size:           4
        .value_kind:     hidden_block_count_y
      - .offset:         64
        .size:           4
        .value_kind:     hidden_block_count_z
      - .offset:         68
        .size:           2
        .value_kind:     hidden_group_size_x
      - .offset:         70
        .size:           2
        .value_kind:     hidden_group_size_y
      - .offset:         72
        .size:           2
        .value_kind:     hidden_group_size_z
      - .offset:         74
        .size:           2
        .value_kind:     hidden_remainder_x
      - .offset:         76
        .size:           2
        .value_kind:     hidden_remainder_y
      - .offset:         78
        .size:           2
        .value_kind:     hidden_remainder_z
      - .offset:         96
        .size:           8
        .value_kind:     hidden_global_offset_x
      - .offset:         104
        .size:           8
        .value_kind:     hidden_global_offset_y
      - .offset:         112
        .size:           8
        .value_kind:     hidden_global_offset_z
      - .offset:         120
        .size:           2
        .value_kind:     hidden_grid_dims
      - .offset:         136
        .size:           8
        .value_kind:     hidden_hostcall_buffer
    .group_segment_fixed_size: 0
    .kernarg_segment_align: 8
    .kernarg_segment_size: 312
    .language:       OpenCL C
    .language_version:
      - 2
      - 0
    .max_flat_workgroup_size: 512
    .name:           _ZN2at6native30tinygemm_m16n8k16_chunk_kernelINS0_10ALayout_RMILNS0_14KReductionTypeE0EEENS0_15BLayout_TC_int4ILi4ELi64EEES4_Li8ELi8EEEvPKvS8_S8_Pviiiiii
    .private_segment_fixed_size: 0
    .sgpr_count:     23
    .sgpr_spill_count: 0
    .symbol:         _ZN2at6native30tinygemm_m16n8k16_chunk_kernelINS0_10ALayout_RMILNS0_14KReductionTypeE0EEENS0_15BLayout_TC_int4ILi4ELi64EEES4_Li8ELi8EEEvPKvS8_S8_Pviiiiii.kd
    .uniform_work_group_size: 1
    .uses_dynamic_stack: false
    .vgpr_count:     32
    .vgpr_spill_count: 0
    .wavefront_size: 64
  - .args:
      - .actual_access:  read_only
        .address_space:  global
        .offset:         0
        .size:           8
        .value_kind:     global_buffer
      - .actual_access:  read_only
        .address_space:  global
        .offset:         8
        .size:           8
        .value_kind:     global_buffer
      - .actual_access:  read_only
        .address_space:  global
        .offset:         16
        .size:           8
        .value_kind:     global_buffer
      - .actual_access:  read_only
        .address_space:  global
        .offset:         24
        .size:           8
        .value_kind:     global_buffer
      - .offset:         32
        .size:           4
        .value_kind:     by_value
      - .offset:         36
        .size:           4
        .value_kind:     by_value
      - .offset:         40
        .size:           4
        .value_kind:     by_value
      - .offset:         44
        .size:           4
        .value_kind:     by_value
      - .offset:         48
        .size:           4
        .value_kind:     by_value
      - .offset:         52
        .size:           4
        .value_kind:     by_value
      - .offset:         56
        .size:           4
        .value_kind:     hidden_block_count_x
      - .offset:         60
        .size:           4
        .value_kind:     hidden_block_count_y
      - .offset:         64
        .size:           4
        .value_kind:     hidden_block_count_z
      - .offset:         68
        .size:           2
        .value_kind:     hidden_group_size_x
      - .offset:         70
        .size:           2
        .value_kind:     hidden_group_size_y
      - .offset:         72
        .size:           2
        .value_kind:     hidden_group_size_z
      - .offset:         74
        .size:           2
        .value_kind:     hidden_remainder_x
      - .offset:         76
        .size:           2
        .value_kind:     hidden_remainder_y
      - .offset:         78
        .size:           2
        .value_kind:     hidden_remainder_z
      - .offset:         96
        .size:           8
        .value_kind:     hidden_global_offset_x
      - .offset:         104
        .size:           8
        .value_kind:     hidden_global_offset_y
      - .offset:         112
        .size:           8
        .value_kind:     hidden_global_offset_z
      - .offset:         120
        .size:           2
        .value_kind:     hidden_grid_dims
      - .offset:         136
        .size:           8
        .value_kind:     hidden_hostcall_buffer
    .group_segment_fixed_size: 0
    .kernarg_segment_align: 8
    .kernarg_segment_size: 312
    .language:       OpenCL C
    .language_version:
      - 2
      - 0
    .max_flat_workgroup_size: 512
    .name:           _ZN2at6native30tinygemm_m16n8k16_chunk_kernelINS0_10ALayout_RMILNS0_14KReductionTypeE0EEENS0_15BLayout_TC_int4ILi8ELi64EEES4_Li8ELi8EEEvPKvS8_S8_Pviiiiii
    .private_segment_fixed_size: 0
    .sgpr_count:     23
    .sgpr_spill_count: 0
    .symbol:         _ZN2at6native30tinygemm_m16n8k16_chunk_kernelINS0_10ALayout_RMILNS0_14KReductionTypeE0EEENS0_15BLayout_TC_int4ILi8ELi64EEES4_Li8ELi8EEEvPKvS8_S8_Pviiiiii.kd
    .uniform_work_group_size: 1
    .uses_dynamic_stack: false
    .vgpr_count:     32
    .vgpr_spill_count: 0
    .wavefront_size: 64
  - .args:
      - .actual_access:  read_only
        .address_space:  global
        .offset:         0
        .size:           8
        .value_kind:     global_buffer
      - .actual_access:  read_only
        .address_space:  global
        .offset:         8
        .size:           8
        .value_kind:     global_buffer
      - .actual_access:  read_only
        .address_space:  global
        .offset:         16
        .size:           8
        .value_kind:     global_buffer
      - .actual_access:  read_only
        .address_space:  global
        .offset:         24
        .size:           8
        .value_kind:     global_buffer
      - .offset:         32
        .size:           4
        .value_kind:     by_value
      - .offset:         36
        .size:           4
        .value_kind:     by_value
      - .offset:         40
        .size:           4
        .value_kind:     by_value
      - .offset:         44
        .size:           4
        .value_kind:     by_value
      - .offset:         48
        .size:           4
        .value_kind:     by_value
      - .offset:         52
        .size:           4
        .value_kind:     by_value
      - .offset:         56
        .size:           4
        .value_kind:     hidden_block_count_x
      - .offset:         60
        .size:           4
        .value_kind:     hidden_block_count_y
      - .offset:         64
        .size:           4
        .value_kind:     hidden_block_count_z
      - .offset:         68
        .size:           2
        .value_kind:     hidden_group_size_x
      - .offset:         70
        .size:           2
        .value_kind:     hidden_group_size_y
      - .offset:         72
        .size:           2
        .value_kind:     hidden_group_size_z
      - .offset:         74
        .size:           2
        .value_kind:     hidden_remainder_x
      - .offset:         76
        .size:           2
        .value_kind:     hidden_remainder_y
      - .offset:         78
        .size:           2
        .value_kind:     hidden_remainder_z
      - .offset:         96
        .size:           8
        .value_kind:     hidden_global_offset_x
      - .offset:         104
        .size:           8
        .value_kind:     hidden_global_offset_y
      - .offset:         112
        .size:           8
        .value_kind:     hidden_global_offset_z
      - .offset:         120
        .size:           2
        .value_kind:     hidden_grid_dims
      - .offset:         136
        .size:           8
        .value_kind:     hidden_hostcall_buffer
    .group_segment_fixed_size: 0
    .kernarg_segment_align: 8
    .kernarg_segment_size: 312
    .language:       OpenCL C
    .language_version:
      - 2
      - 0
    .max_flat_workgroup_size: 512
    .name:           _ZN2at6native30tinygemm_m16n8k16_chunk_kernelINS0_10ALayout_RMILNS0_14KReductionTypeE0EEENS0_15BLayout_TC_int4ILi2ELi128EEES4_Li8ELi8EEEvPKvS8_S8_Pviiiiii
    .private_segment_fixed_size: 0
    .sgpr_count:     23
    .sgpr_spill_count: 0
    .symbol:         _ZN2at6native30tinygemm_m16n8k16_chunk_kernelINS0_10ALayout_RMILNS0_14KReductionTypeE0EEENS0_15BLayout_TC_int4ILi2ELi128EEES4_Li8ELi8EEEvPKvS8_S8_Pviiiiii.kd
    .uniform_work_group_size: 1
    .uses_dynamic_stack: false
    .vgpr_count:     32
    .vgpr_spill_count: 0
    .wavefront_size: 64
  - .args:
      - .actual_access:  read_only
        .address_space:  global
        .offset:         0
        .size:           8
        .value_kind:     global_buffer
      - .actual_access:  read_only
        .address_space:  global
        .offset:         8
        .size:           8
        .value_kind:     global_buffer
      - .actual_access:  read_only
        .address_space:  global
        .offset:         16
        .size:           8
        .value_kind:     global_buffer
      - .actual_access:  read_only
        .address_space:  global
        .offset:         24
        .size:           8
        .value_kind:     global_buffer
      - .offset:         32
        .size:           4
        .value_kind:     by_value
      - .offset:         36
        .size:           4
        .value_kind:     by_value
      - .offset:         40
        .size:           4
        .value_kind:     by_value
      - .offset:         44
        .size:           4
        .value_kind:     by_value
      - .offset:         48
        .size:           4
        .value_kind:     by_value
      - .offset:         52
        .size:           4
        .value_kind:     by_value
      - .offset:         56
        .size:           4
        .value_kind:     hidden_block_count_x
      - .offset:         60
        .size:           4
        .value_kind:     hidden_block_count_y
      - .offset:         64
        .size:           4
        .value_kind:     hidden_block_count_z
      - .offset:         68
        .size:           2
        .value_kind:     hidden_group_size_x
      - .offset:         70
        .size:           2
        .value_kind:     hidden_group_size_y
      - .offset:         72
        .size:           2
        .value_kind:     hidden_group_size_z
      - .offset:         74
        .size:           2
        .value_kind:     hidden_remainder_x
      - .offset:         76
        .size:           2
        .value_kind:     hidden_remainder_y
      - .offset:         78
        .size:           2
        .value_kind:     hidden_remainder_z
      - .offset:         96
        .size:           8
        .value_kind:     hidden_global_offset_x
      - .offset:         104
        .size:           8
        .value_kind:     hidden_global_offset_y
      - .offset:         112
        .size:           8
        .value_kind:     hidden_global_offset_z
      - .offset:         120
        .size:           2
        .value_kind:     hidden_grid_dims
      - .offset:         136
        .size:           8
        .value_kind:     hidden_hostcall_buffer
    .group_segment_fixed_size: 0
    .kernarg_segment_align: 8
    .kernarg_segment_size: 312
    .language:       OpenCL C
    .language_version:
      - 2
      - 0
    .max_flat_workgroup_size: 512
    .name:           _ZN2at6native30tinygemm_m16n8k16_chunk_kernelINS0_10ALayout_RMILNS0_14KReductionTypeE0EEENS0_15BLayout_TC_int4ILi4ELi128EEES4_Li8ELi8EEEvPKvS8_S8_Pviiiiii
    .private_segment_fixed_size: 0
    .sgpr_count:     23
    .sgpr_spill_count: 0
    .symbol:         _ZN2at6native30tinygemm_m16n8k16_chunk_kernelINS0_10ALayout_RMILNS0_14KReductionTypeE0EEENS0_15BLayout_TC_int4ILi4ELi128EEES4_Li8ELi8EEEvPKvS8_S8_Pviiiiii.kd
    .uniform_work_group_size: 1
    .uses_dynamic_stack: false
    .vgpr_count:     32
    .vgpr_spill_count: 0
    .wavefront_size: 64
  - .args:
      - .actual_access:  read_only
        .address_space:  global
        .offset:         0
        .size:           8
        .value_kind:     global_buffer
      - .actual_access:  read_only
        .address_space:  global
        .offset:         8
        .size:           8
        .value_kind:     global_buffer
      - .actual_access:  read_only
        .address_space:  global
        .offset:         16
        .size:           8
        .value_kind:     global_buffer
      - .actual_access:  read_only
        .address_space:  global
        .offset:         24
        .size:           8
        .value_kind:     global_buffer
      - .offset:         32
        .size:           4
        .value_kind:     by_value
      - .offset:         36
        .size:           4
        .value_kind:     by_value
      - .offset:         40
        .size:           4
        .value_kind:     by_value
      - .offset:         44
        .size:           4
        .value_kind:     by_value
      - .offset:         48
        .size:           4
        .value_kind:     by_value
      - .offset:         52
        .size:           4
        .value_kind:     by_value
      - .offset:         56
        .size:           4
        .value_kind:     hidden_block_count_x
      - .offset:         60
        .size:           4
        .value_kind:     hidden_block_count_y
      - .offset:         64
        .size:           4
        .value_kind:     hidden_block_count_z
      - .offset:         68
        .size:           2
        .value_kind:     hidden_group_size_x
      - .offset:         70
        .size:           2
        .value_kind:     hidden_group_size_y
      - .offset:         72
        .size:           2
        .value_kind:     hidden_group_size_z
      - .offset:         74
        .size:           2
        .value_kind:     hidden_remainder_x
      - .offset:         76
        .size:           2
        .value_kind:     hidden_remainder_y
      - .offset:         78
        .size:           2
        .value_kind:     hidden_remainder_z
      - .offset:         96
        .size:           8
        .value_kind:     hidden_global_offset_x
      - .offset:         104
        .size:           8
        .value_kind:     hidden_global_offset_y
      - .offset:         112
        .size:           8
        .value_kind:     hidden_global_offset_z
      - .offset:         120
        .size:           2
        .value_kind:     hidden_grid_dims
      - .offset:         136
        .size:           8
        .value_kind:     hidden_hostcall_buffer
    .group_segment_fixed_size: 0
    .kernarg_segment_align: 8
    .kernarg_segment_size: 312
    .language:       OpenCL C
    .language_version:
      - 2
      - 0
    .max_flat_workgroup_size: 512
    .name:           _ZN2at6native30tinygemm_m16n8k16_chunk_kernelINS0_10ALayout_RMILNS0_14KReductionTypeE0EEENS0_15BLayout_TC_int4ILi8ELi128EEES4_Li8ELi8EEEvPKvS8_S8_Pviiiiii
    .private_segment_fixed_size: 0
    .sgpr_count:     23
    .sgpr_spill_count: 0
    .symbol:         _ZN2at6native30tinygemm_m16n8k16_chunk_kernelINS0_10ALayout_RMILNS0_14KReductionTypeE0EEENS0_15BLayout_TC_int4ILi8ELi128EEES4_Li8ELi8EEEvPKvS8_S8_Pviiiiii.kd
    .uniform_work_group_size: 1
    .uses_dynamic_stack: false
    .vgpr_count:     32
    .vgpr_spill_count: 0
    .wavefront_size: 64
  - .args:
      - .actual_access:  read_only
        .address_space:  global
        .offset:         0
        .size:           8
        .value_kind:     global_buffer
      - .actual_access:  read_only
        .address_space:  global
        .offset:         8
        .size:           8
        .value_kind:     global_buffer
      - .actual_access:  read_only
        .address_space:  global
        .offset:         16
        .size:           8
        .value_kind:     global_buffer
      - .actual_access:  read_only
        .address_space:  global
        .offset:         24
        .size:           8
        .value_kind:     global_buffer
      - .offset:         32
        .size:           4
        .value_kind:     by_value
      - .offset:         36
        .size:           4
        .value_kind:     by_value
      - .offset:         40
        .size:           4
        .value_kind:     by_value
      - .offset:         44
        .size:           4
        .value_kind:     by_value
      - .offset:         48
        .size:           4
        .value_kind:     by_value
      - .offset:         52
        .size:           4
        .value_kind:     by_value
      - .offset:         56
        .size:           4
        .value_kind:     hidden_block_count_x
      - .offset:         60
        .size:           4
        .value_kind:     hidden_block_count_y
      - .offset:         64
        .size:           4
        .value_kind:     hidden_block_count_z
      - .offset:         68
        .size:           2
        .value_kind:     hidden_group_size_x
      - .offset:         70
        .size:           2
        .value_kind:     hidden_group_size_y
      - .offset:         72
        .size:           2
        .value_kind:     hidden_group_size_z
      - .offset:         74
        .size:           2
        .value_kind:     hidden_remainder_x
      - .offset:         76
        .size:           2
        .value_kind:     hidden_remainder_y
      - .offset:         78
        .size:           2
        .value_kind:     hidden_remainder_z
      - .offset:         96
        .size:           8
        .value_kind:     hidden_global_offset_x
      - .offset:         104
        .size:           8
        .value_kind:     hidden_global_offset_y
      - .offset:         112
        .size:           8
        .value_kind:     hidden_global_offset_z
      - .offset:         120
        .size:           2
        .value_kind:     hidden_grid_dims
      - .offset:         136
        .size:           8
        .value_kind:     hidden_hostcall_buffer
    .group_segment_fixed_size: 0
    .kernarg_segment_align: 8
    .kernarg_segment_size: 312
    .language:       OpenCL C
    .language_version:
      - 2
      - 0
    .max_flat_workgroup_size: 512
    .name:           _ZN2at6native30tinygemm_m16n8k16_chunk_kernelINS0_10ALayout_RMILNS0_14KReductionTypeE0EEENS0_15BLayout_TC_int4ILi2ELi256EEES4_Li8ELi8EEEvPKvS8_S8_Pviiiiii
    .private_segment_fixed_size: 0
    .sgpr_count:     23
    .sgpr_spill_count: 0
    .symbol:         _ZN2at6native30tinygemm_m16n8k16_chunk_kernelINS0_10ALayout_RMILNS0_14KReductionTypeE0EEENS0_15BLayout_TC_int4ILi2ELi256EEES4_Li8ELi8EEEvPKvS8_S8_Pviiiiii.kd
    .uniform_work_group_size: 1
    .uses_dynamic_stack: false
    .vgpr_count:     32
    .vgpr_spill_count: 0
    .wavefront_size: 64
  - .args:
      - .actual_access:  read_only
        .address_space:  global
        .offset:         0
        .size:           8
        .value_kind:     global_buffer
      - .actual_access:  read_only
        .address_space:  global
        .offset:         8
        .size:           8
        .value_kind:     global_buffer
      - .actual_access:  read_only
        .address_space:  global
        .offset:         16
        .size:           8
        .value_kind:     global_buffer
      - .actual_access:  read_only
        .address_space:  global
        .offset:         24
        .size:           8
        .value_kind:     global_buffer
      - .offset:         32
        .size:           4
        .value_kind:     by_value
      - .offset:         36
        .size:           4
        .value_kind:     by_value
      - .offset:         40
        .size:           4
        .value_kind:     by_value
      - .offset:         44
        .size:           4
        .value_kind:     by_value
      - .offset:         48
        .size:           4
        .value_kind:     by_value
      - .offset:         52
        .size:           4
        .value_kind:     by_value
      - .offset:         56
        .size:           4
        .value_kind:     hidden_block_count_x
      - .offset:         60
        .size:           4
        .value_kind:     hidden_block_count_y
      - .offset:         64
        .size:           4
        .value_kind:     hidden_block_count_z
      - .offset:         68
        .size:           2
        .value_kind:     hidden_group_size_x
      - .offset:         70
        .size:           2
        .value_kind:     hidden_group_size_y
      - .offset:         72
        .size:           2
        .value_kind:     hidden_group_size_z
      - .offset:         74
        .size:           2
        .value_kind:     hidden_remainder_x
      - .offset:         76
        .size:           2
        .value_kind:     hidden_remainder_y
      - .offset:         78
        .size:           2
        .value_kind:     hidden_remainder_z
      - .offset:         96
        .size:           8
        .value_kind:     hidden_global_offset_x
      - .offset:         104
        .size:           8
        .value_kind:     hidden_global_offset_y
      - .offset:         112
        .size:           8
        .value_kind:     hidden_global_offset_z
      - .offset:         120
        .size:           2
        .value_kind:     hidden_grid_dims
      - .offset:         136
        .size:           8
        .value_kind:     hidden_hostcall_buffer
    .group_segment_fixed_size: 0
    .kernarg_segment_align: 8
    .kernarg_segment_size: 312
    .language:       OpenCL C
    .language_version:
      - 2
      - 0
    .max_flat_workgroup_size: 512
    .name:           _ZN2at6native30tinygemm_m16n8k16_chunk_kernelINS0_10ALayout_RMILNS0_14KReductionTypeE0EEENS0_15BLayout_TC_int4ILi4ELi256EEES4_Li8ELi8EEEvPKvS8_S8_Pviiiiii
    .private_segment_fixed_size: 0
    .sgpr_count:     23
    .sgpr_spill_count: 0
    .symbol:         _ZN2at6native30tinygemm_m16n8k16_chunk_kernelINS0_10ALayout_RMILNS0_14KReductionTypeE0EEENS0_15BLayout_TC_int4ILi4ELi256EEES4_Li8ELi8EEEvPKvS8_S8_Pviiiiii.kd
    .uniform_work_group_size: 1
    .uses_dynamic_stack: false
    .vgpr_count:     32
    .vgpr_spill_count: 0
    .wavefront_size: 64
  - .args:
      - .actual_access:  read_only
        .address_space:  global
        .offset:         0
        .size:           8
        .value_kind:     global_buffer
      - .actual_access:  read_only
        .address_space:  global
        .offset:         8
        .size:           8
        .value_kind:     global_buffer
      - .actual_access:  read_only
        .address_space:  global
        .offset:         16
        .size:           8
        .value_kind:     global_buffer
      - .actual_access:  read_only
        .address_space:  global
        .offset:         24
        .size:           8
        .value_kind:     global_buffer
      - .offset:         32
        .size:           4
        .value_kind:     by_value
      - .offset:         36
        .size:           4
        .value_kind:     by_value
      - .offset:         40
        .size:           4
        .value_kind:     by_value
      - .offset:         44
        .size:           4
        .value_kind:     by_value
      - .offset:         48
        .size:           4
        .value_kind:     by_value
      - .offset:         52
        .size:           4
        .value_kind:     by_value
      - .offset:         56
        .size:           4
        .value_kind:     hidden_block_count_x
      - .offset:         60
        .size:           4
        .value_kind:     hidden_block_count_y
      - .offset:         64
        .size:           4
        .value_kind:     hidden_block_count_z
      - .offset:         68
        .size:           2
        .value_kind:     hidden_group_size_x
      - .offset:         70
        .size:           2
        .value_kind:     hidden_group_size_y
      - .offset:         72
        .size:           2
        .value_kind:     hidden_group_size_z
      - .offset:         74
        .size:           2
        .value_kind:     hidden_remainder_x
      - .offset:         76
        .size:           2
        .value_kind:     hidden_remainder_y
      - .offset:         78
        .size:           2
        .value_kind:     hidden_remainder_z
      - .offset:         96
        .size:           8
        .value_kind:     hidden_global_offset_x
      - .offset:         104
        .size:           8
        .value_kind:     hidden_global_offset_y
      - .offset:         112
        .size:           8
        .value_kind:     hidden_global_offset_z
      - .offset:         120
        .size:           2
        .value_kind:     hidden_grid_dims
      - .offset:         136
        .size:           8
        .value_kind:     hidden_hostcall_buffer
    .group_segment_fixed_size: 0
    .kernarg_segment_align: 8
    .kernarg_segment_size: 312
    .language:       OpenCL C
    .language_version:
      - 2
      - 0
    .max_flat_workgroup_size: 512
    .name:           _ZN2at6native30tinygemm_m16n8k16_chunk_kernelINS0_10ALayout_RMILNS0_14KReductionTypeE0EEENS0_15BLayout_TC_int4ILi8ELi256EEES4_Li8ELi8EEEvPKvS8_S8_Pviiiiii
    .private_segment_fixed_size: 0
    .sgpr_count:     23
    .sgpr_spill_count: 0
    .symbol:         _ZN2at6native30tinygemm_m16n8k16_chunk_kernelINS0_10ALayout_RMILNS0_14KReductionTypeE0EEENS0_15BLayout_TC_int4ILi8ELi256EEES4_Li8ELi8EEEvPKvS8_S8_Pviiiiii.kd
    .uniform_work_group_size: 1
    .uses_dynamic_stack: false
    .vgpr_count:     32
    .vgpr_spill_count: 0
    .wavefront_size: 64
  - .args:
      - .offset:         0
        .size:           24
        .value_kind:     by_value
      - .offset:         24
        .size:           40
        .value_kind:     by_value
    .group_segment_fixed_size: 0
    .kernarg_segment_align: 8
    .kernarg_segment_size: 64
    .language:       OpenCL C
    .language_version:
      - 2
      - 0
    .max_flat_workgroup_size: 1024
    .name:           _ZN2at6native31matrix_to_m16n8k16_Bint4_layoutILi2EEEvN5torch10headeronly6detail27GenericPackedTensorAccessorINS4_14TensorAccessorIN3c108ArrayRefIlEEhLm1ENS3_17RestrictPtrTraitsEiEENS_6detail16IndexBoundsCheckILm2EiEEhLm2ESA_iEENS5_INS6_IS9_iLm3ESA_iEENSD_ILm4EiEEiLm4ESA_iEE
    .private_segment_fixed_size: 0
    .sgpr_count:     16
    .sgpr_spill_count: 0
    .symbol:         _ZN2at6native31matrix_to_m16n8k16_Bint4_layoutILi2EEEvN5torch10headeronly6detail27GenericPackedTensorAccessorINS4_14TensorAccessorIN3c108ArrayRefIlEEhLm1ENS3_17RestrictPtrTraitsEiEENS_6detail16IndexBoundsCheckILm2EiEEhLm2ESA_iEENS5_INS6_IS9_iLm3ESA_iEENSD_ILm4EiEEiLm4ESA_iEE.kd
    .uniform_work_group_size: 1
    .uses_dynamic_stack: false
    .vgpr_count:     11
    .vgpr_spill_count: 0
    .wavefront_size: 64
  - .args:
      - .offset:         0
        .size:           24
        .value_kind:     by_value
      - .offset:         24
        .size:           40
        .value_kind:     by_value
    .group_segment_fixed_size: 0
    .kernarg_segment_align: 8
    .kernarg_segment_size: 64
    .language:       OpenCL C
    .language_version:
      - 2
      - 0
    .max_flat_workgroup_size: 1024
    .name:           _ZN2at6native31matrix_to_m16n8k16_Bint4_layoutILi4EEEvN5torch10headeronly6detail27GenericPackedTensorAccessorINS4_14TensorAccessorIN3c108ArrayRefIlEEhLm1ENS3_17RestrictPtrTraitsEiEENS_6detail16IndexBoundsCheckILm2EiEEhLm2ESA_iEENS5_INS6_IS9_iLm3ESA_iEENSD_ILm4EiEEiLm4ESA_iEE
    .private_segment_fixed_size: 0
    .sgpr_count:     16
    .sgpr_spill_count: 0
    .symbol:         _ZN2at6native31matrix_to_m16n8k16_Bint4_layoutILi4EEEvN5torch10headeronly6detail27GenericPackedTensorAccessorINS4_14TensorAccessorIN3c108ArrayRefIlEEhLm1ENS3_17RestrictPtrTraitsEiEENS_6detail16IndexBoundsCheckILm2EiEEhLm2ESA_iEENS5_INS6_IS9_iLm3ESA_iEENSD_ILm4EiEEiLm4ESA_iEE.kd
    .uniform_work_group_size: 1
    .uses_dynamic_stack: false
    .vgpr_count:     12
    .vgpr_spill_count: 0
    .wavefront_size: 64
  - .args:
      - .offset:         0
        .size:           24
        .value_kind:     by_value
      - .offset:         24
        .size:           40
        .value_kind:     by_value
    .group_segment_fixed_size: 0
    .kernarg_segment_align: 8
    .kernarg_segment_size: 64
    .language:       OpenCL C
    .language_version:
      - 2
      - 0
    .max_flat_workgroup_size: 1024
    .name:           _ZN2at6native31matrix_to_m16n8k16_Bint4_layoutILi8EEEvN5torch10headeronly6detail27GenericPackedTensorAccessorINS4_14TensorAccessorIN3c108ArrayRefIlEEhLm1ENS3_17RestrictPtrTraitsEiEENS_6detail16IndexBoundsCheckILm2EiEEhLm2ESA_iEENS5_INS6_IS9_iLm3ESA_iEENSD_ILm4EiEEiLm4ESA_iEE
    .private_segment_fixed_size: 0
    .sgpr_count:     16
    .sgpr_spill_count: 0
    .symbol:         _ZN2at6native31matrix_to_m16n8k16_Bint4_layoutILi8EEEvN5torch10headeronly6detail27GenericPackedTensorAccessorINS4_14TensorAccessorIN3c108ArrayRefIlEEhLm1ENS3_17RestrictPtrTraitsEiEENS_6detail16IndexBoundsCheckILm2EiEEhLm2ESA_iEENS5_INS6_IS9_iLm3ESA_iEENSD_ILm4EiEEiLm4ESA_iEE.kd
    .uniform_work_group_size: 1
    .uses_dynamic_stack: false
    .vgpr_count:     13
    .vgpr_spill_count: 0
    .wavefront_size: 64
amdhsa.target:   amdgcn-amd-amdhsa--gfx906
amdhsa.version:
  - 1
  - 2
...

	.end_amdgpu_metadata
